;; amdgpu-corpus repo=ROCm/rocFFT kind=compiled arch=gfx1030 opt=O3
	.text
	.amdgcn_target "amdgcn-amd-amdhsa--gfx1030"
	.amdhsa_code_object_version 6
	.protected	fft_rtc_back_len2401_factors_7_7_7_7_wgs_49_tpt_49_halfLds_dp_ip_CI_unitstride_sbrr_dirReg ; -- Begin function fft_rtc_back_len2401_factors_7_7_7_7_wgs_49_tpt_49_halfLds_dp_ip_CI_unitstride_sbrr_dirReg
	.globl	fft_rtc_back_len2401_factors_7_7_7_7_wgs_49_tpt_49_halfLds_dp_ip_CI_unitstride_sbrr_dirReg
	.p2align	8
	.type	fft_rtc_back_len2401_factors_7_7_7_7_wgs_49_tpt_49_halfLds_dp_ip_CI_unitstride_sbrr_dirReg,@function
fft_rtc_back_len2401_factors_7_7_7_7_wgs_49_tpt_49_halfLds_dp_ip_CI_unitstride_sbrr_dirReg: ; @fft_rtc_back_len2401_factors_7_7_7_7_wgs_49_tpt_49_halfLds_dp_ip_CI_unitstride_sbrr_dirReg
; %bb.0:
	s_mov_b64 s[30:31], s[2:3]
	s_mov_b64 s[28:29], s[0:1]
	s_clause 0x2
	s_load_dwordx4 s[8:11], s[4:5], 0x0
	s_load_dwordx2 s[2:3], s[4:5], 0x50
	s_load_dwordx2 s[12:13], s[4:5], 0x18
	v_mul_u32_u24_e32 v1, 0x53a, v0
	v_mov_b32_e32 v3, 0
	s_add_u32 s28, s28, s7
	s_addc_u32 s29, s29, 0
	v_add_nc_u32_sdwa v5, s6, v1 dst_sel:DWORD dst_unused:UNUSED_PAD src0_sel:DWORD src1_sel:WORD_1
	v_mov_b32_e32 v1, 0
	v_mov_b32_e32 v6, v3
	;; [unrolled: 1-line block ×3, first 2 shown]
	s_waitcnt lgkmcnt(0)
	v_cmp_lt_u64_e64 s0, s[10:11], 2
	s_and_b32 vcc_lo, exec_lo, s0
	s_cbranch_vccnz .LBB0_8
; %bb.1:
	s_load_dwordx2 s[0:1], s[4:5], 0x10
	v_mov_b32_e32 v1, 0
	s_add_u32 s6, s12, 8
	v_mov_b32_e32 v2, 0
	s_addc_u32 s7, s13, 0
	s_mov_b64 s[16:17], 1
	s_waitcnt lgkmcnt(0)
	s_add_u32 s14, s0, 8
	s_addc_u32 s15, s1, 0
.LBB0_2:                                ; =>This Inner Loop Header: Depth=1
	s_load_dwordx2 s[18:19], s[14:15], 0x0
                                        ; implicit-def: $vgpr7_vgpr8
	s_mov_b32 s0, exec_lo
	s_waitcnt lgkmcnt(0)
	v_or_b32_e32 v4, s19, v6
	v_cmpx_ne_u64_e32 0, v[3:4]
	s_xor_b32 s1, exec_lo, s0
	s_cbranch_execz .LBB0_4
; %bb.3:                                ;   in Loop: Header=BB0_2 Depth=1
	v_cvt_f32_u32_e32 v4, s18
	v_cvt_f32_u32_e32 v7, s19
	s_sub_u32 s0, 0, s18
	s_subb_u32 s20, 0, s19
	v_fmac_f32_e32 v4, 0x4f800000, v7
	v_rcp_f32_e32 v4, v4
	v_mul_f32_e32 v4, 0x5f7ffffc, v4
	v_mul_f32_e32 v7, 0x2f800000, v4
	v_trunc_f32_e32 v7, v7
	v_fmac_f32_e32 v4, 0xcf800000, v7
	v_cvt_u32_f32_e32 v7, v7
	v_cvt_u32_f32_e32 v4, v4
	v_mul_lo_u32 v8, s0, v7
	v_mul_hi_u32 v9, s0, v4
	v_mul_lo_u32 v10, s20, v4
	v_add_nc_u32_e32 v8, v9, v8
	v_mul_lo_u32 v9, s0, v4
	v_add_nc_u32_e32 v8, v8, v10
	v_mul_hi_u32 v10, v4, v9
	v_mul_lo_u32 v11, v4, v8
	v_mul_hi_u32 v12, v4, v8
	v_mul_hi_u32 v13, v7, v9
	v_mul_lo_u32 v9, v7, v9
	v_mul_hi_u32 v14, v7, v8
	v_mul_lo_u32 v8, v7, v8
	v_add_co_u32 v10, vcc_lo, v10, v11
	v_add_co_ci_u32_e32 v11, vcc_lo, 0, v12, vcc_lo
	v_add_co_u32 v9, vcc_lo, v10, v9
	v_add_co_ci_u32_e32 v9, vcc_lo, v11, v13, vcc_lo
	v_add_co_ci_u32_e32 v10, vcc_lo, 0, v14, vcc_lo
	v_add_co_u32 v8, vcc_lo, v9, v8
	v_add_co_ci_u32_e32 v9, vcc_lo, 0, v10, vcc_lo
	v_add_co_u32 v4, vcc_lo, v4, v8
	v_add_co_ci_u32_e32 v7, vcc_lo, v7, v9, vcc_lo
	v_mul_hi_u32 v8, s0, v4
	v_mul_lo_u32 v10, s20, v4
	v_mul_lo_u32 v9, s0, v7
	v_add_nc_u32_e32 v8, v8, v9
	v_mul_lo_u32 v9, s0, v4
	v_add_nc_u32_e32 v8, v8, v10
	v_mul_hi_u32 v10, v4, v9
	v_mul_lo_u32 v11, v4, v8
	v_mul_hi_u32 v12, v4, v8
	v_mul_hi_u32 v13, v7, v9
	v_mul_lo_u32 v9, v7, v9
	v_mul_hi_u32 v14, v7, v8
	v_mul_lo_u32 v8, v7, v8
	v_add_co_u32 v10, vcc_lo, v10, v11
	v_add_co_ci_u32_e32 v11, vcc_lo, 0, v12, vcc_lo
	v_add_co_u32 v9, vcc_lo, v10, v9
	v_add_co_ci_u32_e32 v9, vcc_lo, v11, v13, vcc_lo
	v_add_co_ci_u32_e32 v10, vcc_lo, 0, v14, vcc_lo
	v_add_co_u32 v8, vcc_lo, v9, v8
	v_add_co_ci_u32_e32 v9, vcc_lo, 0, v10, vcc_lo
	v_add_co_u32 v4, vcc_lo, v4, v8
	v_add_co_ci_u32_e32 v11, vcc_lo, v7, v9, vcc_lo
	v_mul_hi_u32 v13, v5, v4
	v_mad_u64_u32 v[9:10], null, v6, v4, 0
	v_mad_u64_u32 v[7:8], null, v5, v11, 0
	;; [unrolled: 1-line block ×3, first 2 shown]
	v_add_co_u32 v4, vcc_lo, v13, v7
	v_add_co_ci_u32_e32 v7, vcc_lo, 0, v8, vcc_lo
	v_add_co_u32 v4, vcc_lo, v4, v9
	v_add_co_ci_u32_e32 v4, vcc_lo, v7, v10, vcc_lo
	v_add_co_ci_u32_e32 v7, vcc_lo, 0, v12, vcc_lo
	v_add_co_u32 v4, vcc_lo, v4, v11
	v_add_co_ci_u32_e32 v9, vcc_lo, 0, v7, vcc_lo
	v_mul_lo_u32 v10, s19, v4
	v_mad_u64_u32 v[7:8], null, s18, v4, 0
	v_mul_lo_u32 v11, s18, v9
	v_sub_co_u32 v7, vcc_lo, v5, v7
	v_add3_u32 v8, v8, v11, v10
	v_sub_nc_u32_e32 v10, v6, v8
	v_subrev_co_ci_u32_e64 v10, s0, s19, v10, vcc_lo
	v_add_co_u32 v11, s0, v4, 2
	v_add_co_ci_u32_e64 v12, s0, 0, v9, s0
	v_sub_co_u32 v13, s0, v7, s18
	v_sub_co_ci_u32_e32 v8, vcc_lo, v6, v8, vcc_lo
	v_subrev_co_ci_u32_e64 v10, s0, 0, v10, s0
	v_cmp_le_u32_e32 vcc_lo, s18, v13
	v_cmp_eq_u32_e64 s0, s19, v8
	v_cndmask_b32_e64 v13, 0, -1, vcc_lo
	v_cmp_le_u32_e32 vcc_lo, s19, v10
	v_cndmask_b32_e64 v14, 0, -1, vcc_lo
	v_cmp_le_u32_e32 vcc_lo, s18, v7
	;; [unrolled: 2-line block ×3, first 2 shown]
	v_cndmask_b32_e64 v15, 0, -1, vcc_lo
	v_cmp_eq_u32_e32 vcc_lo, s19, v10
	v_cndmask_b32_e64 v7, v15, v7, s0
	v_cndmask_b32_e32 v10, v14, v13, vcc_lo
	v_add_co_u32 v13, vcc_lo, v4, 1
	v_add_co_ci_u32_e32 v14, vcc_lo, 0, v9, vcc_lo
	v_cmp_ne_u32_e32 vcc_lo, 0, v10
	v_cndmask_b32_e32 v8, v14, v12, vcc_lo
	v_cndmask_b32_e32 v10, v13, v11, vcc_lo
	v_cmp_ne_u32_e32 vcc_lo, 0, v7
	v_cndmask_b32_e32 v8, v9, v8, vcc_lo
	v_cndmask_b32_e32 v7, v4, v10, vcc_lo
.LBB0_4:                                ;   in Loop: Header=BB0_2 Depth=1
	s_andn2_saveexec_b32 s0, s1
	s_cbranch_execz .LBB0_6
; %bb.5:                                ;   in Loop: Header=BB0_2 Depth=1
	v_cvt_f32_u32_e32 v4, s18
	s_sub_i32 s1, 0, s18
	v_rcp_iflag_f32_e32 v4, v4
	v_mul_f32_e32 v4, 0x4f7ffffe, v4
	v_cvt_u32_f32_e32 v4, v4
	v_mul_lo_u32 v7, s1, v4
	v_mul_hi_u32 v7, v4, v7
	v_add_nc_u32_e32 v4, v4, v7
	v_mul_hi_u32 v4, v5, v4
	v_mul_lo_u32 v7, v4, s18
	v_add_nc_u32_e32 v8, 1, v4
	v_sub_nc_u32_e32 v7, v5, v7
	v_subrev_nc_u32_e32 v9, s18, v7
	v_cmp_le_u32_e32 vcc_lo, s18, v7
	v_cndmask_b32_e32 v7, v7, v9, vcc_lo
	v_cndmask_b32_e32 v4, v4, v8, vcc_lo
	v_cmp_le_u32_e32 vcc_lo, s18, v7
	v_add_nc_u32_e32 v8, 1, v4
	v_cndmask_b32_e32 v7, v4, v8, vcc_lo
	v_mov_b32_e32 v8, v3
.LBB0_6:                                ;   in Loop: Header=BB0_2 Depth=1
	s_or_b32 exec_lo, exec_lo, s0
	s_load_dwordx2 s[0:1], s[6:7], 0x0
	v_mul_lo_u32 v4, v8, s18
	v_mul_lo_u32 v11, v7, s19
	v_mad_u64_u32 v[9:10], null, v7, s18, 0
	s_add_u32 s16, s16, 1
	s_addc_u32 s17, s17, 0
	s_add_u32 s6, s6, 8
	s_addc_u32 s7, s7, 0
	;; [unrolled: 2-line block ×3, first 2 shown]
	v_add3_u32 v4, v10, v11, v4
	v_sub_co_u32 v5, vcc_lo, v5, v9
	v_sub_co_ci_u32_e32 v4, vcc_lo, v6, v4, vcc_lo
	s_waitcnt lgkmcnt(0)
	v_mul_lo_u32 v6, s1, v5
	v_mul_lo_u32 v4, s0, v4
	v_mad_u64_u32 v[1:2], null, s0, v5, v[1:2]
	v_cmp_ge_u64_e64 s0, s[16:17], s[10:11]
	s_and_b32 vcc_lo, exec_lo, s0
	v_add3_u32 v2, v6, v2, v4
	s_cbranch_vccnz .LBB0_9
; %bb.7:                                ;   in Loop: Header=BB0_2 Depth=1
	v_mov_b32_e32 v5, v7
	v_mov_b32_e32 v6, v8
	s_branch .LBB0_2
.LBB0_8:
	v_mov_b32_e32 v8, v6
	v_mov_b32_e32 v7, v5
.LBB0_9:
	s_lshl_b64 s[0:1], s[10:11], 3
	v_mul_hi_u32 v5, 0x539782a, v0
	s_add_u32 s0, s12, s0
	s_addc_u32 s1, s13, s1
                                        ; implicit-def: $vgpr22_vgpr23
                                        ; implicit-def: $vgpr30_vgpr31
                                        ; implicit-def: $vgpr26_vgpr27
                                        ; implicit-def: $vgpr10_vgpr11
                                        ; implicit-def: $vgpr18_vgpr19
                                        ; implicit-def: $vgpr54_vgpr55
                                        ; implicit-def: $vgpr66_vgpr67
                                        ; implicit-def: $vgpr50_vgpr51
                                        ; implicit-def: $vgpr46_vgpr47
                                        ; implicit-def: $vgpr62_vgpr63
                                        ; implicit-def: $vgpr58_vgpr59
                                        ; implicit-def: $vgpr14_vgpr15
                                        ; implicit-def: $vgpr98_vgpr99
                                        ; implicit-def: $vgpr70_vgpr71
                                        ; implicit-def: $vgpr106_vgpr107
                                        ; implicit-def: $vgpr102_vgpr103
                                        ; implicit-def: $vgpr42_vgpr43
                                        ; implicit-def: $vgpr110_vgpr111
                                        ; implicit-def: $vgpr34_vgpr35
                                        ; implicit-def: $vgpr138_vgpr139
                                        ; implicit-def: $vgpr90_vgpr91
                                        ; implicit-def: $vgpr82_vgpr83
                                        ; implicit-def: $vgpr142_vgpr143
                                        ; implicit-def: $vgpr78_vgpr79
                                        ; implicit-def: $vgpr74_vgpr75
                                        ; implicit-def: $vgpr38_vgpr39
                                        ; implicit-def: $vgpr158_vgpr159
                                        ; implicit-def: $vgpr130_vgpr131
                                        ; implicit-def: $vgpr122_vgpr123
                                        ; implicit-def: $vgpr94_vgpr95
                                        ; implicit-def: $vgpr114_vgpr115
                                        ; implicit-def: $vgpr86_vgpr87
                                        ; implicit-def: $vgpr154_vgpr155
                                        ; implicit-def: $vgpr170_vgpr171
                                        ; implicit-def: $vgpr166_vgpr167
                                        ; implicit-def: $vgpr146_vgpr147
                                        ; implicit-def: $vgpr134_vgpr135
                                        ; implicit-def: $vgpr118_vgpr119
                                        ; implicit-def: $vgpr126_vgpr127
                                        ; implicit-def: $vgpr162_vgpr163
                                        ; implicit-def: $vgpr186_vgpr187
                                        ; implicit-def: $vgpr194_vgpr195
                                        ; implicit-def: $vgpr190_vgpr191
                                        ; implicit-def: $vgpr150_vgpr151
                                        ; implicit-def: $vgpr182_vgpr183
                                        ; implicit-def: $vgpr178_vgpr179
                                        ; implicit-def: $vgpr174_vgpr175
	s_load_dwordx2 s[0:1], s[0:1], 0x0
	s_load_dwordx2 s[4:5], s[4:5], 0x20
	s_waitcnt lgkmcnt(0)
	v_mul_lo_u32 v3, s0, v8
	v_mul_lo_u32 v4, s1, v7
	v_mad_u64_u32 v[1:2], null, s0, v7, v[1:2]
	v_cmp_gt_u64_e32 vcc_lo, s[4:5], v[7:8]
                                        ; implicit-def: $vgpr6_vgpr7
	v_add3_u32 v2, v4, v2, v3
	v_mul_u32_u24_e32 v3, 49, v5
	v_lshlrev_b64 v[1:2], 4, v[1:2]
	v_sub_nc_u32_e32 v243, v0, v3
	buffer_store_dword v1, off, s[28:31], 0 ; 4-byte Folded Spill
	buffer_store_dword v2, off, s[28:31], 0 offset:4 ; 4-byte Folded Spill
                                        ; implicit-def: $vgpr2_vgpr3
	s_and_saveexec_b32 s1, vcc_lo
	s_cbranch_execz .LBB0_11
; %bb.10:
	s_clause 0x1
	buffer_load_dword v2, off, s[28:31], 0
	buffer_load_dword v3, off, s[28:31], 0 offset:4
	v_mov_b32_e32 v244, 0
	v_lshlrev_b64 v[0:1], 4, v[243:244]
	s_waitcnt vmcnt(1)
	v_add_co_u32 v2, s0, s2, v2
	s_waitcnt vmcnt(0)
	v_add_co_ci_u32_e64 v3, s0, s3, v3, s0
	v_add_co_u32 v0, s0, v2, v0
	v_add_co_ci_u32_e64 v1, s0, v3, v1, s0
	v_add_co_u32 v2, s0, 0x2800, v0
	;; [unrolled: 2-line block ×10, first 2 shown]
	v_add_co_ci_u32_e64 v15, s0, 0, v1, s0
	s_clause 0x5
	global_load_dwordx4 v[148:151], v[6:7], off offset:80
	global_load_dwordx4 v[116:119], v[2:3], off offset:1520
	;; [unrolled: 1-line block ×6, first 2 shown]
	v_add_co_u32 v6, s0, 0x7000, v0
	v_add_co_ci_u32_e64 v7, s0, 0, v1, s0
	v_add_co_u32 v16, s0, 0x800, v0
	v_add_co_ci_u32_e64 v17, s0, 0, v1, s0
	s_clause 0x3
	global_load_dwordx4 v[144:147], v[12:13], off offset:208
	global_load_dwordx4 v[72:75], v[10:11], off offset:1696
	;; [unrolled: 1-line block ×4, first 2 shown]
	v_add_co_u32 v10, s0, 0x4800, v0
	v_add_co_ci_u32_e64 v11, s0, 0, v1, s0
	v_add_co_u32 v18, s0, 0x8800, v0
	v_add_co_ci_u32_e64 v19, s0, 0, v1, s0
	;; [unrolled: 2-line block ×6, first 2 shown]
	v_add_co_u32 v199, s0, 0x9000, v0
	s_clause 0x7
	global_load_dwordx4 v[120:123], v[12:13], off offset:992
	global_load_dwordx4 v[80:83], v[12:13], off offset:1776
	;; [unrolled: 1-line block ×8, first 2 shown]
	v_add_co_ci_u32_e64 v200, s0, 0, v1, s0
	s_clause 0x1e
	global_load_dwordx4 v[12:15], v[16:17], off offset:1872
	global_load_dwordx4 v[140:143], v[10:11], off offset:384
	;; [unrolled: 1-line block ×8, first 2 shown]
	global_load_dwordx4 v[172:175], v[0:1], off
	global_load_dwordx4 v[160:163], v[0:1], off offset:784
	global_load_dwordx4 v[180:183], v[2:3], off offset:736
	;; [unrolled: 1-line block ×22, first 2 shown]
.LBB0_11:
	s_or_b32 exec_lo, exec_lo, s1
	s_waitcnt vmcnt(6)
	v_add_f64 v[199:200], v[184:185], v[176:177]
	v_add_f64 v[201:202], v[186:187], v[178:179]
	s_waitcnt vmcnt(4)
	v_add_f64 v[203:204], v[192:193], v[180:181]
	v_add_f64 v[205:206], v[194:195], v[182:183]
	v_add_f64 v[180:181], v[180:181], -v[192:193]
	v_add_f64 v[182:183], v[182:183], -v[194:195]
	v_add_f64 v[192:193], v[188:189], v[148:149]
	v_add_f64 v[194:195], v[190:191], v[150:151]
	v_add_f64 v[148:149], v[188:189], -v[148:149]
	v_add_f64 v[150:151], v[190:191], -v[150:151]
	v_add_f64 v[176:177], v[176:177], -v[184:185]
	v_add_f64 v[178:179], v[178:179], -v[186:187]
	s_mov_b32 s4, 0x37e14327
	s_mov_b32 s12, 0x36b3c0b5
	;; [unrolled: 1-line block ×8, first 2 shown]
	v_add_f64 v[215:216], v[168:169], v[124:125]
	v_add_f64 v[217:218], v[170:171], v[126:127]
	v_add_f64 v[219:220], v[124:125], -v[168:169]
	s_mov_b32 s10, 0xaaaaaaaa
	v_add_f64 v[184:185], v[203:204], v[199:200]
	v_add_f64 v[186:187], v[205:206], v[201:202]
	s_mov_b32 s6, 0x5476071b
	s_mov_b32 s20, 0xb247c609
	v_add_f64 v[188:189], v[199:200], -v[192:193]
	v_add_f64 v[190:191], v[201:202], -v[194:195]
	v_add_f64 v[207:208], v[148:149], -v[180:181]
	v_add_f64 v[209:210], v[150:151], -v[182:183]
	v_add_f64 v[211:212], v[180:181], -v[176:177]
	v_add_f64 v[213:214], v[182:183], -v[178:179]
	v_add_f64 v[180:181], v[148:149], v[180:181]
	v_add_f64 v[182:183], v[150:151], v[182:183]
	v_add_f64 v[148:149], v[176:177], -v[148:149]
	v_add_f64 v[150:151], v[178:179], -v[150:151]
	s_mov_b32 s11, 0xbff2aaaa
	s_mov_b32 s7, 0x3fe77f67
	;; [unrolled: 1-line block ×8, first 2 shown]
	v_add_f64 v[184:185], v[192:193], v[184:185]
	v_add_f64 v[186:187], v[194:195], v[186:187]
	v_add_f64 v[192:193], v[192:193], -v[203:204]
	v_add_f64 v[194:195], v[194:195], -v[205:206]
	v_mul_f64 v[188:189], v[188:189], s[4:5]
	v_mul_f64 v[190:191], v[190:191], s[4:5]
	;; [unrolled: 1-line block ×6, first 2 shown]
	s_mov_b32 s15, 0xbfdc38aa
	v_add_f64 v[168:169], v[172:173], v[184:185]
	v_add_f64 v[124:125], v[174:175], v[186:187]
	v_add_f64 v[172:173], v[203:204], -v[199:200]
	v_add_f64 v[174:175], v[205:206], -v[201:202]
	v_mul_f64 v[199:200], v[192:193], s[12:13]
	v_add_f64 v[203:204], v[126:127], -v[170:171]
	v_add_f64 v[170:171], v[166:167], v[118:119]
	v_mul_f64 v[201:202], v[194:195], s[12:13]
	v_add_f64 v[126:127], v[164:165], v[116:117]
	v_add_f64 v[116:117], v[116:117], -v[164:165]
	v_add_f64 v[164:165], v[180:181], v[176:177]
	v_add_f64 v[176:177], v[182:183], v[178:179]
	v_fma_f64 v[178:179], v[192:193], s[12:13], v[188:189]
	v_fma_f64 v[180:181], v[194:195], s[12:13], v[190:191]
	;; [unrolled: 1-line block ×4, first 2 shown]
	v_fma_f64 v[194:195], v[211:212], s[0:1], -v[207:208]
	v_fma_f64 v[205:206], v[213:214], s[0:1], -v[209:210]
	;; [unrolled: 1-line block ×4, first 2 shown]
	v_add_f64 v[118:119], v[118:119], -v[166:167]
	v_add_f64 v[166:167], v[144:145], v[132:133]
	v_fma_f64 v[184:185], v[184:185], s[10:11], v[168:169]
	v_fma_f64 v[186:187], v[186:187], s[10:11], v[124:125]
	v_fma_f64 v[188:189], v[172:173], s[18:19], -v[188:189]
	v_fma_f64 v[190:191], v[174:175], s[18:19], -v[190:191]
	;; [unrolled: 1-line block ×3, first 2 shown]
	v_add_f64 v[199:200], v[146:147], v[134:135]
	v_add_f64 v[146:147], v[146:147], -v[134:135]
	v_add_f64 v[134:135], v[170:171], v[217:218]
	v_fma_f64 v[174:175], v[174:175], s[6:7], -v[201:202]
	v_add_f64 v[201:202], v[144:145], -v[132:133]
	v_add_f64 v[207:208], v[156:157], v[84:85]
	v_add_f64 v[209:210], v[158:159], v[86:87]
	;; [unrolled: 1-line block ×4, first 2 shown]
	v_fma_f64 v[144:145], v[164:165], s[14:15], v[182:183]
	v_fma_f64 v[182:183], v[176:177], s[14:15], v[192:193]
	;; [unrolled: 1-line block ×6, first 2 shown]
	v_add_f64 v[213:214], v[126:127], -v[215:216]
	v_add_f64 v[221:222], v[170:171], -v[217:218]
	v_add_f64 v[164:165], v[178:179], v[184:185]
	v_add_f64 v[178:179], v[180:181], v[186:187]
	;; [unrolled: 1-line block ×6, first 2 shown]
	v_add_f64 v[215:216], v[215:216], -v[166:167]
	v_add_f64 v[217:218], v[217:218], -v[199:200]
	v_add_f64 v[225:226], v[199:200], -v[170:171]
	v_add_f64 v[199:200], v[199:200], v[134:135]
	v_add_f64 v[186:187], v[174:175], v[186:187]
	;; [unrolled: 1-line block ×3, first 2 shown]
	v_add_f64 v[223:224], v[166:167], -v[126:127]
	v_add_f64 v[227:228], v[201:202], v[116:117]
	v_add_f64 v[229:230], v[146:147], v[118:119]
	v_add_f64 v[231:232], v[201:202], -v[116:117]
	v_add_f64 v[233:234], v[166:167], v[132:133]
	v_add_f64 v[235:236], v[146:147], -v[118:119]
	v_add_f64 v[237:238], v[116:117], -v[219:220]
	;; [unrolled: 1-line block ×5, first 2 shown]
	v_add_f64 v[176:177], v[182:183], v[164:165]
	v_add_f64 v[118:119], v[178:179], -v[144:145]
	v_add_f64 v[172:173], v[150:151], v[180:181]
	v_add_f64 v[116:117], v[188:189], -v[148:149]
	v_add_f64 v[174:175], v[184:185], -v[194:195]
	v_add_f64 v[166:167], v[194:195], v[184:185]
	v_add_f64 v[170:171], v[180:181], -v[150:151]
	v_add_f64 v[134:135], v[148:149], v[188:189]
	v_add_f64 v[164:165], v[164:165], -v[182:183]
	v_add_f64 v[144:145], v[144:145], v[178:179]
	v_add_f64 v[148:149], v[122:123], v[94:95]
	v_add_f64 v[150:151], v[211:212], v[207:208]
	;; [unrolled: 1-line block ×3, first 2 shown]
	v_add_f64 v[182:183], v[203:204], -v[146:147]
	v_add_f64 v[146:147], v[162:163], v[199:200]
	v_mul_f64 v[162:163], v[215:216], s[4:5]
	v_mul_f64 v[184:185], v[217:218], s[4:5]
	v_add_f64 v[94:95], v[122:123], -v[94:95]
	v_add_f64 v[92:93], v[120:121], -v[92:93]
	;; [unrolled: 1-line block ×4, first 2 shown]
	v_add_f64 v[126:127], v[192:193], v[186:187]
	v_add_f64 v[132:133], v[186:187], -v[192:193]
	v_add_f64 v[180:181], v[219:220], -v[201:202]
	v_add_f64 v[160:161], v[160:161], v[233:234]
	v_mul_f64 v[186:187], v[223:224], s[12:13]
	v_mul_f64 v[188:189], v[225:226], s[12:13]
	v_add_f64 v[122:123], v[227:228], v[219:220]
	v_add_f64 v[130:131], v[229:230], v[203:204]
	v_mul_f64 v[84:85], v[231:232], s[16:17]
	v_mul_f64 v[112:113], v[235:236], s[16:17]
	;; [unrolled: 1-line block ×3, first 2 shown]
	v_add_f64 v[192:193], v[207:208], -v[205:206]
	v_add_f64 v[150:151], v[205:206], v[150:151]
	v_add_f64 v[178:179], v[148:149], v[178:179]
	v_add_f64 v[194:195], v[209:210], -v[148:149]
	v_add_f64 v[205:206], v[205:206], -v[211:212]
	v_fma_f64 v[203:204], v[223:224], s[12:13], v[162:163]
	v_fma_f64 v[215:216], v[225:226], s[12:13], v[184:185]
	v_add_f64 v[148:149], v[148:149], -v[190:191]
	v_add_f64 v[217:218], v[94:95], -v[114:115]
	;; [unrolled: 1-line block ×5, first 2 shown]
	v_mul_f64 v[156:157], v[237:238], s[0:1]
	v_fma_f64 v[199:200], v[199:200], s[10:11], v[146:147]
	v_fma_f64 v[201:202], v[233:234], s[10:11], v[160:161]
	v_fma_f64 v[186:187], v[213:214], s[6:7], -v[186:187]
	v_fma_f64 v[188:189], v[221:222], s[6:7], -v[188:189]
	;; [unrolled: 1-line block ×4, first 2 shown]
	v_fma_f64 v[213:214], v[180:181], s[20:21], v[84:85]
	v_fma_f64 v[221:222], v[182:183], s[20:21], v[112:113]
	v_fma_f64 v[227:228], v[237:238], s[0:1], -v[84:85]
	v_fma_f64 v[229:230], v[239:240], s[0:1], -v[112:113]
	v_add_f64 v[84:85], v[152:153], v[150:151]
	v_add_f64 v[112:113], v[154:155], v[178:179]
	v_mul_f64 v[152:153], v[192:193], s[4:5]
	v_mul_f64 v[154:155], v[194:195], s[4:5]
	v_add_f64 v[192:193], v[211:212], -v[207:208]
	v_add_f64 v[190:191], v[190:191], -v[209:210]
	v_add_f64 v[128:129], v[92:93], v[128:129]
	v_add_f64 v[114:115], v[94:95], v[114:115]
	v_mul_f64 v[194:195], v[205:206], s[12:13]
	v_mul_f64 v[207:208], v[148:149], s[12:13]
	v_add_f64 v[92:93], v[120:121], -v[92:93]
	v_add_f64 v[94:95], v[86:87], -v[94:95]
	v_mul_f64 v[209:210], v[217:218], s[16:17]
	v_mul_f64 v[211:212], v[219:220], s[16:17]
	v_mul_f64 v[217:218], v[223:224], s[0:1]
	v_mul_f64 v[219:220], v[225:226], s[0:1]
	v_fma_f64 v[158:159], v[182:183], s[22:23], -v[158:159]
	v_fma_f64 v[156:157], v[180:181], s[22:23], -v[156:157]
	v_add_f64 v[182:183], v[203:204], v[201:202]
	v_add_f64 v[203:204], v[215:216], v[199:200]
	;; [unrolled: 1-line block ×4, first 2 shown]
	v_fma_f64 v[150:151], v[150:151], s[10:11], v[84:85]
	v_fma_f64 v[178:179], v[178:179], s[10:11], v[112:113]
	;; [unrolled: 1-line block ×4, first 2 shown]
	v_add_f64 v[162:163], v[162:163], v[201:202]
	v_add_f64 v[184:185], v[184:185], v[199:200]
	;; [unrolled: 1-line block ×4, first 2 shown]
	v_fma_f64 v[114:115], v[192:193], s[6:7], -v[194:195]
	v_fma_f64 v[128:129], v[190:191], s[6:7], -v[207:208]
	;; [unrolled: 1-line block ×4, first 2 shown]
	v_fma_f64 v[186:187], v[94:95], s[20:21], v[209:210]
	v_fma_f64 v[190:191], v[92:93], s[20:21], v[211:212]
	v_fma_f64 v[94:95], v[94:95], s[22:23], -v[217:218]
	v_fma_f64 v[92:93], v[92:93], s[22:23], -v[219:220]
	;; [unrolled: 1-line block ×4, first 2 shown]
	v_fma_f64 v[199:200], v[130:131], s[14:15], v[221:222]
	v_fma_f64 v[201:202], v[122:123], s[14:15], v[213:214]
	;; [unrolled: 1-line block ×5, first 2 shown]
	v_add_f64 v[211:212], v[136:137], v[72:73]
	v_add_f64 v[213:214], v[138:139], v[74:75]
	;; [unrolled: 1-line block ×4, first 2 shown]
	v_fma_f64 v[156:157], v[122:123], s[14:15], v[156:157]
	v_add_f64 v[207:208], v[180:181], v[150:151]
	v_add_f64 v[209:210], v[148:149], v[178:179]
	;; [unrolled: 1-line block ×4, first 2 shown]
	v_add_f64 v[88:89], v[76:77], -v[88:89]
	v_add_f64 v[78:79], v[78:79], -v[90:91]
	v_fma_f64 v[229:230], v[86:87], s[14:15], v[186:187]
	v_fma_f64 v[231:232], v[120:121], s[14:15], v[190:191]
	;; [unrolled: 1-line block ×3, first 2 shown]
	v_add_f64 v[225:226], v[152:153], v[150:151]
	v_fma_f64 v[192:193], v[86:87], s[14:15], v[192:193]
	v_fma_f64 v[194:195], v[120:121], s[14:15], v[194:195]
	v_add_f64 v[227:228], v[154:155], v[178:179]
	v_fma_f64 v[235:236], v[120:121], s[14:15], v[92:93]
	v_add_f64 v[178:179], v[199:200], v[182:183]
	v_add_f64 v[186:187], v[215:216], -v[130:131]
	v_add_f64 v[122:123], v[205:206], v[188:189]
	v_add_f64 v[94:95], v[130:131], v[215:216]
	v_add_f64 v[128:129], v[188:189], -v[205:206]
	v_add_f64 v[188:189], v[80:81], v[140:141]
	v_add_f64 v[205:206], v[82:83], v[142:143]
	;; [unrolled: 1-line block ×4, first 2 shown]
	v_add_f64 v[80:81], v[80:81], -v[140:141]
	v_add_f64 v[82:83], v[82:83], -v[142:143]
	;; [unrolled: 1-line block ×3, first 2 shown]
	v_add_f64 v[180:181], v[158:159], v[162:163]
	v_add_f64 v[120:121], v[184:185], -v[156:157]
	v_add_f64 v[190:191], v[162:163], -v[158:159]
	v_add_f64 v[150:151], v[156:157], v[184:185]
	v_add_f64 v[182:183], v[182:183], -v[199:200]
	v_add_f64 v[130:131], v[201:202], v[203:204]
	v_add_f64 v[162:163], v[229:230], v[207:208]
	v_add_f64 v[148:149], v[209:210], -v[231:232]
	v_add_f64 v[92:93], v[221:222], -v[192:193]
	v_add_f64 v[154:155], v[194:195], v[223:224]
	v_add_f64 v[76:77], v[192:193], v[221:222]
	v_add_f64 v[140:141], v[223:224], -v[194:195]
	v_add_f64 v[90:91], v[72:73], -v[136:137]
	;; [unrolled: 1-line block ×3, first 2 shown]
	v_add_f64 v[201:202], v[96:97], v[108:109]
	v_add_f64 v[192:193], v[211:212], -v[188:189]
	v_add_f64 v[194:195], v[213:214], -v[205:206]
	v_add_f64 v[158:159], v[188:189], v[215:216]
	v_add_f64 v[184:185], v[205:206], v[237:238]
	v_add_f64 v[188:189], v[188:189], -v[217:218]
	v_add_f64 v[199:200], v[205:206], -v[219:220]
	v_add_f64 v[203:204], v[98:99], v[110:111]
	v_add_f64 v[205:206], v[68:69], v[40:41]
	;; [unrolled: 1-line block ×3, first 2 shown]
	v_add_f64 v[74:75], v[207:208], -v[229:230]
	v_add_f64 v[138:139], v[231:232], v[209:210]
	v_add_f64 v[207:208], v[217:218], -v[211:212]
	v_add_f64 v[209:210], v[219:220], -v[213:214]
	;; [unrolled: 1-line block ×4, first 2 shown]
	v_add_f64 v[86:87], v[233:234], v[225:226]
	v_add_f64 v[152:153], v[227:228], -v[235:236]
	v_add_f64 v[72:73], v[225:226], -v[233:234]
	v_add_f64 v[136:137], v[235:236], v[227:228]
	v_add_f64 v[217:218], v[80:81], v[88:89]
	;; [unrolled: 1-line block ×3, first 2 shown]
	v_add_f64 v[80:81], v[90:91], -v[80:81]
	v_add_f64 v[82:83], v[156:157], -v[82:83]
	;; [unrolled: 1-line block ×4, first 2 shown]
	v_add_f64 v[36:37], v[36:37], v[158:159]
	v_add_f64 v[142:143], v[38:39], v[184:185]
	v_mul_f64 v[38:39], v[192:193], s[4:5]
	v_mul_f64 v[192:193], v[194:195], s[4:5]
	;; [unrolled: 1-line block ×4, first 2 shown]
	v_add_f64 v[223:224], v[104:105], v[100:101]
	v_add_f64 v[225:226], v[106:107], v[102:103]
	;; [unrolled: 1-line block ×4, first 2 shown]
	v_add_f64 v[40:41], v[40:41], -v[68:69]
	v_add_f64 v[42:43], v[42:43], -v[70:71]
	;; [unrolled: 1-line block ×4, first 2 shown]
	v_mul_f64 v[100:101], v[211:212], s[16:17]
	v_mul_f64 v[102:103], v[213:214], s[16:17]
	v_add_f64 v[96:97], v[108:109], -v[96:97]
	v_add_f64 v[90:91], v[217:218], v[90:91]
	v_add_f64 v[104:105], v[219:220], v[156:157]
	v_add_f64 v[106:107], v[110:111], -v[98:99]
	v_mul_f64 v[98:99], v[88:89], s[0:1]
	v_mul_f64 v[108:109], v[78:79], s[0:1]
	v_fma_f64 v[110:111], v[158:159], s[10:11], v[36:37]
	v_fma_f64 v[156:157], v[184:185], s[10:11], v[142:143]
	;; [unrolled: 1-line block ×4, first 2 shown]
	v_fma_f64 v[188:189], v[207:208], s[6:7], -v[194:195]
	v_fma_f64 v[194:195], v[209:210], s[6:7], -v[221:222]
	;; [unrolled: 1-line block ×4, first 2 shown]
	v_add_f64 v[199:200], v[223:224], v[227:228]
	v_add_f64 v[207:208], v[225:226], v[229:230]
	v_add_f64 v[209:210], v[201:202], -v[223:224]
	v_add_f64 v[211:212], v[203:204], -v[225:226]
	;; [unrolled: 1-line block ×4, first 2 shown]
	v_fma_f64 v[219:220], v[80:81], s[20:21], v[100:101]
	v_fma_f64 v[221:222], v[82:83], s[20:21], v[102:103]
	v_fma_f64 v[88:89], v[88:89], s[0:1], -v[100:101]
	v_add_f64 v[227:228], v[40:41], -v[96:97]
	v_add_f64 v[100:101], v[223:224], -v[205:206]
	v_fma_f64 v[78:79], v[78:79], s[0:1], -v[102:103]
	v_add_f64 v[102:103], v[42:43], -v[106:107]
	v_fma_f64 v[80:81], v[80:81], s[22:23], -v[98:99]
	v_fma_f64 v[82:83], v[82:83], s[22:23], -v[108:109]
	v_add_f64 v[108:109], v[225:226], -v[215:216]
	v_add_f64 v[40:41], v[70:71], v[40:41]
	v_add_f64 v[42:43], v[68:69], v[42:43]
	v_add_f64 v[70:71], v[96:97], -v[70:71]
	v_add_f64 v[68:69], v[106:107], -v[68:69]
	;; [unrolled: 1-line block ×4, first 2 shown]
	v_add_f64 v[32:33], v[32:33], v[199:200]
	v_add_f64 v[98:99], v[34:35], v[207:208]
	v_mul_f64 v[34:35], v[209:210], s[4:5]
	v_mul_f64 v[209:210], v[211:212], s[4:5]
	;; [unrolled: 1-line block ×4, first 2 shown]
	v_add_f64 v[158:159], v[158:159], v[110:111]
	v_fma_f64 v[217:218], v[104:105], s[14:15], v[221:222]
	v_add_f64 v[184:185], v[184:185], v[156:157]
	v_mul_f64 v[215:216], v[227:228], s[0:1]
	v_mul_f64 v[221:222], v[100:101], s[12:13]
	v_add_f64 v[188:189], v[188:189], v[110:111]
	v_add_f64 v[194:195], v[194:195], v[156:157]
	v_mul_f64 v[205:206], v[102:103], s[0:1]
	v_add_f64 v[38:39], v[38:39], v[110:111]
	v_mul_f64 v[223:224], v[108:109], s[12:13]
	v_add_f64 v[110:111], v[192:193], v[156:157]
	v_add_f64 v[40:41], v[40:41], v[96:97]
	;; [unrolled: 1-line block ×3, first 2 shown]
	v_fma_f64 v[88:89], v[90:91], s[14:15], v[88:89]
	v_fma_f64 v[219:220], v[90:91], s[14:15], v[219:220]
	v_fma_f64 v[80:81], v[90:91], s[14:15], v[80:81]
	v_fma_f64 v[96:97], v[199:200], s[10:11], v[32:33]
	v_fma_f64 v[156:157], v[207:208], s[10:11], v[98:99]
	v_fma_f64 v[106:107], v[100:101], s[12:13], v[34:35]
	v_fma_f64 v[34:35], v[201:202], s[18:19], -v[34:35]
	v_fma_f64 v[192:193], v[68:69], s[20:21], v[211:212]
	v_fma_f64 v[199:200], v[70:71], s[20:21], v[213:214]
	v_fma_f64 v[207:208], v[102:103], s[0:1], -v[211:212]
	v_add_f64 v[211:212], v[54:55], v[58:59]
	v_fma_f64 v[82:83], v[104:105], s[14:15], v[82:83]
	v_fma_f64 v[70:71], v[70:71], s[22:23], -v[215:216]
	v_fma_f64 v[201:202], v[201:202], s[6:7], -v[221:222]
	s_waitcnt vmcnt(2)
	v_add_f64 v[215:216], v[66:67], v[62:63]
	v_fma_f64 v[108:109], v[108:109], s[12:13], v[209:210]
	v_fma_f64 v[78:79], v[104:105], s[14:15], v[78:79]
	v_fma_f64 v[90:91], v[203:204], s[18:19], -v[209:210]
	v_fma_f64 v[68:69], v[68:69], s[22:23], -v[205:206]
	;; [unrolled: 1-line block ×4, first 2 shown]
	v_add_f64 v[209:210], v[52:53], v[56:57]
	v_add_f64 v[213:214], v[64:65], v[60:61]
	;; [unrolled: 1-line block ×3, first 2 shown]
	v_add_f64 v[60:61], v[60:61], -v[64:65]
	v_add_f64 v[62:63], v[62:63], -v[66:67]
	s_waitcnt vmcnt(1)
	v_add_f64 v[64:65], v[30:31], v[18:19]
	v_add_f64 v[221:222], v[106:107], v[96:97]
	v_add_f64 v[106:107], v[194:195], -v[88:89]
	v_add_f64 v[194:195], v[50:51], v[46:47]
	v_fma_f64 v[225:226], v[42:43], s[14:15], v[192:193]
	v_fma_f64 v[199:200], v[40:41], s[14:15], v[199:200]
	v_add_f64 v[34:35], v[34:35], v[96:97]
	v_add_f64 v[192:193], v[48:49], v[44:45]
	v_fma_f64 v[70:71], v[40:41], s[14:15], v[70:71]
	v_add_f64 v[88:89], v[201:202], v[96:97]
	v_add_f64 v[201:202], v[215:216], v[211:212]
	v_add_f64 v[44:45], v[48:49], -v[44:45]
	v_add_f64 v[231:232], v[188:189], -v[78:79]
	v_add_f64 v[78:79], v[78:79], v[188:189]
	v_fma_f64 v[68:69], v[42:43], s[14:15], v[68:69]
	v_add_f64 v[96:97], v[203:204], v[156:157]
	v_fma_f64 v[40:41], v[40:41], s[14:15], v[205:206]
	v_fma_f64 v[42:43], v[42:43], s[14:15], v[207:208]
	v_add_f64 v[188:189], v[213:214], v[209:210]
	v_add_f64 v[46:47], v[50:51], -v[46:47]
	v_add_f64 v[50:51], v[56:57], -v[52:53]
	v_add_f64 v[52:53], v[58:59], -v[54:55]
	s_waitcnt vmcnt(0)
	v_add_f64 v[54:55], v[20:21], v[4:5]
	v_add_f64 v[56:57], v[22:23], v[6:7]
	;; [unrolled: 1-line block ×4, first 2 shown]
	v_add_f64 v[100:101], v[184:185], -v[219:220]
	v_add_f64 v[102:103], v[110:111], -v[80:81]
	v_add_f64 v[223:224], v[108:109], v[156:157]
	v_add_f64 v[90:91], v[90:91], v[156:157]
	;; [unrolled: 1-line block ×3, first 2 shown]
	v_add_f64 v[80:81], v[158:159], -v[217:218]
	v_add_f64 v[201:202], v[194:195], v[201:202]
	v_add_f64 v[156:157], v[219:220], v[184:185]
	v_add_f64 v[205:206], v[211:212], -v[194:195]
	v_add_f64 v[207:208], v[192:193], -v[213:214]
	;; [unrolled: 1-line block ×3, first 2 shown]
	v_add_f64 v[217:218], v[24:25], v[8:9]
	v_add_f64 v[196:197], v[40:41], v[96:97]
	v_add_f64 v[66:67], v[88:89], -v[42:43]
	v_add_f64 v[203:204], v[192:193], v[188:189]
	v_add_f64 v[42:43], v[42:43], v[88:89]
	v_add_f64 v[188:189], v[96:97], -v[40:41]
	v_add_f64 v[40:41], v[213:214], -v[209:210]
	;; [unrolled: 1-line block ×4, first 2 shown]
	v_add_f64 v[209:210], v[44:45], v[60:61]
	v_add_f64 v[211:212], v[46:47], v[62:63]
	v_add_f64 v[213:214], v[44:45], -v[60:61]
	v_add_f64 v[215:216], v[46:47], -v[62:63]
	v_add_f64 v[219:220], v[26:27], v[10:11]
	v_add_f64 v[233:234], v[58:59], v[54:55]
	;; [unrolled: 1-line block ×3, first 2 shown]
	v_add_f64 v[10:11], v[26:27], -v[10:11]
	v_add_f64 v[244:245], v[14:15], v[201:202]
	v_add_f64 v[14:15], v[16:17], -v[28:29]
	v_add_f64 v[16:17], v[18:19], -v[30:31]
	;; [unrolled: 1-line block ×8, first 2 shown]
	v_mul_f64 v[20:21], v[205:206], s[4:5]
	v_mul_f64 v[22:23], v[207:208], s[12:13]
	;; [unrolled: 1-line block ×3, first 2 shown]
	v_add_f64 v[46:47], v[52:53], -v[46:47]
	v_mul_f64 v[18:19], v[96:97], s[4:5]
	v_add_f64 v[26:27], v[209:210], v[50:51]
	v_add_f64 v[28:29], v[211:212], v[52:53]
	v_mul_f64 v[30:31], v[213:214], s[16:17]
	v_mul_f64 v[50:51], v[215:216], s[16:17]
	v_add_f64 v[211:212], v[54:55], -v[217:218]
	v_add_f64 v[205:206], v[217:218], v[233:234]
	v_add_f64 v[209:210], v[219:220], v[235:236]
	v_add_f64 v[213:214], v[56:57], -v[219:220]
	v_add_f64 v[215:216], v[217:218], -v[58:59]
	;; [unrolled: 1-line block ×7, first 2 shown]
	v_add_f64 v[12:13], v[12:13], v[203:204]
	v_mul_f64 v[52:53], v[60:61], s[0:1]
	v_mul_f64 v[96:97], v[62:63], s[0:1]
	v_fma_f64 v[239:240], v[194:195], s[12:13], v[20:21]
	v_fma_f64 v[22:23], v[40:41], s[6:7], -v[22:23]
	v_fma_f64 v[24:25], v[88:89], s[6:7], -v[24:25]
	;; [unrolled: 1-line block ×3, first 2 shown]
	v_fma_f64 v[207:208], v[207:208], s[12:13], v[18:19]
	v_fma_f64 v[18:19], v[40:41], s[18:19], -v[18:19]
	v_add_f64 v[40:41], v[58:59], -v[54:55]
	v_add_f64 v[54:55], v[64:65], -v[56:57]
	v_add_f64 v[14:15], v[8:9], v[14:15]
	v_add_f64 v[16:17], v[10:11], v[16:17]
	;; [unrolled: 1-line block ×4, first 2 shown]
	v_mul_f64 v[2:3], v[211:212], s[4:5]
	v_mul_f64 v[56:57], v[213:214], s[4:5]
	;; [unrolled: 1-line block ×4, first 2 shown]
	v_add_f64 v[10:11], v[6:7], -v[10:11]
	v_mul_f64 v[88:89], v[219:220], s[16:17]
	v_mul_f64 v[213:214], v[235:236], s[0:1]
	v_add_f64 v[8:9], v[4:5], -v[8:9]
	v_mul_f64 v[211:212], v[233:234], s[16:17]
	v_mul_f64 v[219:220], v[237:238], s[0:1]
	v_fma_f64 v[203:204], v[203:204], s[10:11], v[12:13]
	v_fma_f64 v[201:202], v[201:202], s[10:11], v[244:245]
	;; [unrolled: 1-line block ×4, first 2 shown]
	v_fma_f64 v[30:31], v[60:61], s[0:1], -v[30:31]
	v_fma_f64 v[50:51], v[62:63], s[0:1], -v[50:51]
	;; [unrolled: 1-line block ×4, first 2 shown]
	v_add_f64 v[4:5], v[14:15], v[4:5]
	v_add_f64 v[6:7], v[16:17], v[6:7]
	v_fma_f64 v[14:15], v[205:206], s[10:11], v[0:1]
	v_fma_f64 v[16:17], v[209:210], s[10:11], v[246:247]
	;; [unrolled: 1-line block ×4, first 2 shown]
	v_fma_f64 v[58:59], v[40:41], s[6:7], -v[58:59]
	v_fma_f64 v[64:65], v[54:55], s[6:7], -v[64:65]
	v_fma_f64 v[2:3], v[40:41], s[18:19], -v[2:3]
	v_fma_f64 v[40:41], v[54:55], s[18:19], -v[56:57]
	v_fma_f64 v[54:55], v[10:11], s[20:21], v[88:89]
	v_fma_f64 v[10:11], v[10:11], s[22:23], -v[213:214]
	v_fma_f64 v[88:89], v[235:236], s[0:1], -v[88:89]
	v_fma_f64 v[56:57], v[8:9], s[20:21], v[211:212]
	v_fma_f64 v[8:9], v[8:9], s[22:23], -v[219:220]
	v_fma_f64 v[205:206], v[237:238], s[0:1], -v[211:212]
	v_add_f64 v[52:53], v[207:208], v[203:204]
	v_add_f64 v[22:23], v[22:23], v[203:204]
	;; [unrolled: 1-line block ×4, first 2 shown]
	v_fma_f64 v[213:214], v[28:29], s[14:15], v[241:242]
	v_fma_f64 v[215:216], v[26:27], s[14:15], v[233:234]
	;; [unrolled: 1-line block ×6, first 2 shown]
	v_add_f64 v[30:31], v[62:63], v[14:15]
	v_add_f64 v[50:51], v[96:97], v[16:17]
	;; [unrolled: 1-line block ×6, first 2 shown]
	v_fma_f64 v[16:17], v[6:7], s[14:15], v[54:55]
	v_fma_f64 v[10:11], v[6:7], s[14:15], v[10:11]
	;; [unrolled: 1-line block ×3, first 2 shown]
	v_add_f64 v[24:25], v[24:25], v[201:202]
	v_fma_f64 v[40:41], v[4:5], s[14:15], v[56:57]
	v_fma_f64 v[8:9], v[4:5], s[14:15], v[8:9]
	;; [unrolled: 1-line block ×3, first 2 shown]
	v_add_f64 v[227:228], v[82:83], v[38:39]
	v_add_f64 v[38:39], v[38:39], -v[82:83]
	v_add_f64 v[48:49], v[68:69], v[34:35]
	v_add_f64 v[34:35], v[34:35], -v[68:69]
	v_add_f64 v[54:55], v[221:222], -v[225:226]
	v_add_f64 v[64:65], v[46:47], v[18:19]
	v_add_f64 v[209:210], v[20:21], -v[44:45]
	;; [unrolled: 3-line block ×3, first 2 shown]
	v_add_f64 v[211:212], v[44:45], v[20:21]
	v_add_f64 v[20:21], v[52:53], -v[213:214]
	v_add_f64 v[82:83], v[225:226], v[221:222]
	v_add_f64 v[60:61], v[239:240], v[201:202]
	;; [unrolled: 1-line block ×3, first 2 shown]
	v_mad_u32_u24 v233, v243, 56, 0
	ds_write2_b64 v233, v[168:169], v[176:177] offset1:1
	ds_write2_b64 v233, v[172:173], v[174:175] offset0:2 offset1:3
	v_add_f64 v[28:29], v[58:59], -v[6:7]
	v_add_f64 v[6:7], v[6:7], v[58:59]
	v_add_f64 v[201:202], v[26:27], v[24:25]
	v_add_f64 v[207:208], v[24:25], -v[26:27]
	v_add_f64 v[24:25], v[16:17], v[30:31]
	v_add_f64 v[26:27], v[10:11], v[2:3]
	;; [unrolled: 1-line block ×3, first 2 shown]
	v_add_f64 v[221:222], v[62:63], -v[4:5]
	v_add_f64 v[2:3], v[2:3], -v[10:11]
	;; [unrolled: 1-line block ×3, first 2 shown]
	v_add_nc_u32_e32 v168, 0xab8, v233
	v_add_nc_u32_e32 v173, 0xac8, v233
	ds_write2_b64 v233, v[166:167], v[170:171] offset0:4 offset1:5
	ds_write_b64 v233, v[164:165] offset:48
	ds_write2_b64 v168, v[160:161], v[178:179] offset1:1
	ds_write2_b64 v173, v[180:181], v[186:187] offset1:1
	v_add_nc_u32_e32 v160, 0x1570, v233
	v_add_nc_u32_e32 v167, 0xad8, v233
	;; [unrolled: 1-line block ×5, first 2 shown]
	ds_write2_b64 v160, v[84:85], v[162:163] offset1:1
	v_add_nc_u32_e32 v163, 0x2038, v233
	v_add_nc_u32_e32 v177, 0x35c0, v233
	;; [unrolled: 1-line block ×3, first 2 shown]
	v_lshl_add_u32 v166, v243, 3, 0
	v_add_nc_u32_e32 v175, 0x35a0, v233
	v_add_nc_u32_e32 v178, 0x4058, v233
	v_add_nc_u32_e32 v181, 0x4078, v233
	v_add_nc_u32_e32 v162, 0x2028, v233
	v_add_nc_u32_e32 v170, 0x2ae0, v233
	v_add_nc_u32_e32 v176, 0x35b0, v233
	v_add_nc_u32_e32 v171, 0x2af0, v233
	v_add_nc_u32_e32 v174, 0x2b00, v233
	ds_write2_b64 v167, v[94:95], v[190:191] offset1:1
	ds_write_b64 v233, v[182:183] offset:2792
	ds_write2_b64 v161, v[86:87], v[92:93] offset1:1
	ds_write2_b64 v164, v[76:77], v[72:73] offset1:1
	ds_write_b64 v233, v[74:75] offset:5536
	ds_write2_b64 v162, v[36:37], v[229:230] offset1:1
	ds_write2_b64 v163, v[227:228], v[231:232] offset1:1
	;; [unrolled: 1-line block ×3, first 2 shown]
	ds_write_b64 v233, v[80:81] offset:8280
	ds_write2_b64 v170, v[32:33], v[82:83] offset1:1
	ds_write2_b64 v171, v[48:49], v[66:67] offset1:1
	;; [unrolled: 1-line block ×3, first 2 shown]
	ds_write_b64 v233, v[54:55] offset:11024
	ds_write_b64 v233, v[12:13] offset:13720
	ds_write2_b64 v175, v[56:57], v[64:65] offset1:1
	ds_write2_b64 v176, v[68:69], v[22:23] offset1:1
	;; [unrolled: 1-line block ×3, first 2 shown]
	ds_write_b64 v233, v[0:1] offset:16464
	ds_write2_b64 v178, v[24:25], v[26:27] offset1:1
	ds_write2_b64 v180, v[28:29], v[6:7] offset1:1
	;; [unrolled: 1-line block ×3, first 2 shown]
	v_add_nc_u32_e32 v198, 0x800, v166
	v_add_nc_u32_e32 v0, 0x1000, v166
	v_add_nc_u32_e32 v1, 0x1c00, v166
	v_add_nc_u32_e32 v2, 0x2800, v166
	v_add_nc_u32_e32 v169, 0x4000, v166
	v_add_nc_u32_e32 v4, 0x3000, v166
	v_add_f64 v[108:109], v[223:224], -v[199:200]
	v_add_f64 v[158:159], v[90:91], -v[70:71]
	v_add_f64 v[205:206], v[70:71], v[90:91]
	v_add_f64 v[199:200], v[199:200], v[223:224]
	v_add_f64 v[217:218], v[14:15], -v[8:9]
	v_add_f64 v[223:224], v[8:9], v[14:15]
	s_waitcnt lgkmcnt(0)
	s_waitcnt_vscnt null, 0x0
	s_barrier
	buffer_gl0_inv
	ds_read2_b64 v[192:195], v166 offset1:49
	ds_read2_b64 v[184:187], v198 offset0:38 offset1:87
	ds_read2_b64 v[92:95], v0 offset0:174 offset1:223
	ds_read2_b64 v[20:23], v1 offset0:84 offset1:133
	ds_read2_b64 v[88:91], v2 offset0:92 offset1:141
	ds_read2_b64 v[16:19], v4 offset0:130 offset1:179
	ds_read2_b64 v[84:87], v169 offset0:10 offset1:59
	ds_read2_b64 v[80:83], v198 offset0:136 offset1:185
	ds_read2_b64 v[11:14], v166 offset0:98 offset1:147
	v_mov_b32_e32 v3, v0
	v_add_nc_u32_e32 v0, 0x3400, v166
	v_mov_b32_e32 v7, v4
	v_add_nc_u32_e32 v4, 0x2000, v166
	v_add_nc_u32_e32 v1, 0x1800, v166
	v_add_f64 v[203:204], v[60:61], -v[215:216]
	ds_read2_b64 v[72:75], v0 offset0:100 offset1:149
	v_mov_b32_e32 v5, v0
	v_add_nc_u32_e32 v0, 0xc00, v166
	ds_read2_b64 v[76:79], v4 offset0:54 offset1:103
	s_waitcnt lgkmcnt(2)
	buffer_store_dword v11, off, s[28:31], 0 offset:104 ; 4-byte Folded Spill
	buffer_store_dword v12, off, s[28:31], 0 offset:108 ; 4-byte Folded Spill
	;; [unrolled: 1-line block ×4, first 2 shown]
	v_add_f64 v[215:216], v[215:216], v[60:61]
	ds_read2_b64 v[68:71], v1 offset0:16 offset1:65
	ds_read2_b64 v[64:67], v2 offset0:190 offset1:239
	ds_read2_b64 v[60:63], v169 offset0:108 offset1:157
	ds_read2_b64 v[56:59], v0 offset0:106 offset1:155
	ds_read2_b64 v[24:27], v166 offset0:196 offset1:245
	v_mov_b32_e32 v8, v4
	v_mov_b32_e32 v4, v1
	v_add_nc_u32_e32 v1, 0x3800, v166
	v_mov_b32_e32 v10, v243
	v_mov_b32_e32 v9, v0
	v_add_nc_u32_e32 v0, 0x2400, v166
	ds_read2_b64 v[52:55], v8 offset0:152 offset1:201
	ds_read2_b64 v[44:47], v1 offset0:70 offset1:119
	s_waitcnt lgkmcnt(2)
	buffer_store_dword v24, off, s[28:31], 0 offset:52 ; 4-byte Folded Spill
	buffer_store_dword v25, off, s[28:31], 0 offset:56 ; 4-byte Folded Spill
	;; [unrolled: 1-line block ×4, first 2 shown]
	v_add_f64 v[213:214], v[50:51], -v[40:41]
	v_add_f64 v[225:226], v[40:41], v[50:51]
	v_mov_b32_e32 v12, v8
	v_mov_b32_e32 v8, v1
	ds_read2_b64 v[40:43], v4 offset0:114 offset1:163
	ds_read2_b64 v[36:39], v7 offset0:32 offset1:81
	;; [unrolled: 1-line block ×5, first 2 shown]
	v_and_b32_e32 v0, 0xff, v10
	ds_read2_b64 v[48:51], v1 offset0:168 offset1:217
	ds_read_b64 v[96:97], v166 offset:18816
	v_add_nc_u16 v1, v10, 49
	v_mov_b32_e32 v6, v2
	v_mov_b32_e32 v13, v7
	v_mul_lo_u16 v0, v0, 37
	v_mov_b32_e32 v7, v3
	v_and_b32_e32 v2, 0xff, v1
	v_mov_b32_e32 v179, v4
	s_waitcnt lgkmcnt(0)
	s_waitcnt_vscnt null, 0x0
	v_lshrrev_b16 v0, 8, v0
	s_barrier
	v_mul_lo_u16 v2, v2, 37
	buffer_gl0_inv
	ds_write2_b64 v233, v[124:125], v[118:119] offset1:1
	v_sub_nc_u16 v3, v10, v0
	ds_write2_b64 v233, v[116:117], v[126:127] offset0:2 offset1:3
	ds_write2_b64 v233, v[132:133], v[134:135] offset0:4 offset1:5
	ds_write_b64 v233, v[144:145] offset:48
	v_lshrrev_b16 v2, 8, v2
	ds_write2_b64 v168, v[146:147], v[114:115] offset1:1
	ds_write2_b64 v173, v[120:121], v[122:123] offset1:1
	;; [unrolled: 1-line block ×3, first 2 shown]
	ds_write_b64 v233, v[130:131] offset:2792
	ds_write2_b64 v160, v[112:113], v[148:149] offset1:1
	ds_write2_b64 v161, v[152:153], v[154:155] offset1:1
	v_lshrrev_b16 v3, 1, v3
	ds_write2_b64 v164, v[140:141], v[136:137] offset1:1
	ds_write_b64 v233, v[138:139] offset:5536
	ds_write2_b64 v162, v[142:143], v[100:101] offset1:1
	v_sub_nc_u16 v4, v1, v2
	ds_write2_b64 v163, v[102:103], v[104:105] offset1:1
	ds_write2_b64 v165, v[106:107], v[110:111] offset1:1
	ds_write_b64 v233, v[156:157] offset:8280
	v_mov_b32_e32 v104, 6
	v_and_b32_e32 v3, 0x7f, v3
	v_add_nc_u16 v182, v10, 0x62
	v_lshrrev_b16 v4, 1, v4
	v_add_nc_u16 v183, v10, 0x93
	v_add_nc_u32_e32 v255, 0xc4, v10
	v_add_nc_u16 v0, v3, v0
	v_add_nc_u32_e32 v172, 0xf5, v10
	v_and_b32_e32 v3, 0x7f, v4
	v_lshrrev_b16 v4, 2, v0
	v_add_nc_u16 v0, v3, v2
	v_mul_lo_u16 v2, v4, 7
	buffer_store_dword v4, off, s[28:31], 0 offset:36 ; 4-byte Folded Spill
	v_lshrrev_b16 v0, 2, v0
	ds_write2_b64 v170, v[98:99], v[108:109] offset1:1
	ds_write2_b64 v171, v[158:159], v[196:197] offset1:1
	;; [unrolled: 1-line block ×3, first 2 shown]
	ds_write_b64 v233, v[199:200] offset:11024
	ds_write_b64 v233, v[244:245] offset:13720
	ds_write2_b64 v175, v[203:204], v[209:210] offset1:1
	v_sub_nc_u16 v189, v10, v2
	buffer_store_dword v0, off, s[28:31], 0 offset:20 ; 4-byte Folded Spill
	v_mul_lo_u16 v0, v0, 7
	ds_write2_b64 v176, v[201:202], v[207:208] offset1:1
	ds_write2_b64 v177, v[211:212], v[215:216] offset1:1
	v_mul_u32_u24_sdwa v2, v189, v104 dst_sel:DWORD dst_unused:UNUSED_PAD src0_sel:BYTE_0 src1_sel:DWORD
	ds_write_b64 v233, v[246:247] offset:16464
	ds_write2_b64 v178, v[213:214], v[217:218] offset1:1
	ds_write2_b64 v180, v[219:220], v[221:222] offset1:1
	v_sub_nc_u16 v254, v1, v0
	ds_write2_b64 v181, v[223:224], v[225:226] offset1:1
	v_lshlrev_b32_e32 v0, 4, v2
	s_waitcnt lgkmcnt(0)
	s_waitcnt_vscnt null, 0x0
	s_barrier
	v_mul_u32_u24_sdwa v1, v254, v104 dst_sel:DWORD dst_unused:UNUSED_PAD src0_sel:BYTE_0 src1_sel:DWORD
	buffer_gl0_inv
	global_load_dwordx4 v[98:101], v0, s[8:9] offset:16
	v_and_b32_e32 v2, 0xff, v182
	v_lshlrev_b32_e32 v1, 4, v1
	s_clause 0x3
	global_load_dwordx4 v[105:108], v1, s[8:9] offset:16
	global_load_dwordx4 v[109:112], v0, s[8:9] offset:48
	;; [unrolled: 1-line block ×4, first 2 shown]
	v_mul_lo_u16 v2, v2, 37
	s_clause 0x1
	global_load_dwordx4 v[117:120], v0, s[8:9] offset:80
	global_load_dwordx4 v[125:128], v1, s[8:9]
	v_lshrrev_b16 v2, 8, v2
	v_sub_nc_u16 v3, v182, v2
	v_lshrrev_b16 v3, 1, v3
	v_and_b32_e32 v3, 0x7f, v3
	v_add_nc_u16 v2, v3, v2
	v_and_b32_e32 v3, 0xff, v183
	v_lshrrev_b16 v2, 2, v2
	v_mul_lo_u16 v3, v3, 37
	buffer_store_dword v2, off, s[28:31], 0 offset:68 ; 4-byte Folded Spill
	v_mul_lo_u16 v2, v2, 7
	v_lshrrev_b16 v3, 8, v3
	v_sub_nc_u16 v11, v182, v2
	v_mul_u32_u24_sdwa v2, v11, v104 dst_sel:DWORD dst_unused:UNUSED_PAD src0_sel:BYTE_0 src1_sel:DWORD
	v_lshlrev_b32_e32 v2, 4, v2
	s_clause 0x4
	global_load_dwordx4 v[129:132], v2, s[8:9]
	global_load_dwordx4 v[133:136], v1, s[8:9] offset:32
	global_load_dwordx4 v[137:140], v2, s[8:9] offset:32
	;; [unrolled: 1-line block ×4, first 2 shown]
	v_sub_nc_u16 v1, v183, v3
	global_load_dwordx4 v[145:148], v2, s[8:9] offset:64
	v_lshrrev_b16 v1, 1, v1
	v_and_b32_e32 v1, 0x7f, v1
	v_add_nc_u16 v1, v1, v3
	v_and_b32_e32 v3, 0xff, v255
	v_lshrrev_b16 v1, 2, v1
	buffer_store_dword v1, off, s[28:31], 0 offset:84 ; 4-byte Folded Spill
	v_mul_lo_u16 v1, v1, 7
	v_sub_nc_u16 v188, v183, v1
	v_mul_u32_u24_sdwa v1, v188, v104 dst_sel:DWORD dst_unused:UNUSED_PAD src0_sel:BYTE_0 src1_sel:DWORD
	v_lshlrev_b32_e32 v1, 4, v1
	s_clause 0x3
	global_load_dwordx4 v[153:156], v1, s[8:9] offset:16
	global_load_dwordx4 v[157:160], v2, s[8:9] offset:48
	;; [unrolled: 1-line block ×4, first 2 shown]
	buffer_store_dword v3, off, s[28:31], 0 offset:16 ; 4-byte Folded Spill
	v_mul_lo_u16 v3, v3, 37
	s_clause 0x2
	global_load_dwordx4 v[202:205], v2, s[8:9] offset:80
	global_load_dwordx4 v[210:213], v1, s[8:9]
	global_load_dwordx4 v[226:229], v0, s[8:9]
	ds_read2_b64 v[214:217], v7 offset0:174 offset1:223
	v_lshrrev_b16 v3, 8, v3
	ds_read2_b64 v[222:225], v6 offset0:92 offset1:141
	v_sub_nc_u16 v4, v255, v3
	v_lshrrev_b16 v2, 1, v4
	v_and_b32_e32 v2, 0x7f, v2
	v_add_nc_u16 v2, v2, v3
	v_mov_b32_e32 v3, 0x2493
	v_lshrrev_b16 v2, 2, v2
	buffer_store_dword v2, off, s[28:31], 0 offset:88 ; 4-byte Folded Spill
	v_mul_lo_u16 v2, v2, 7
	v_sub_nc_u16 v199, v255, v2
	v_mul_u32_u24_sdwa v2, v199, v104 dst_sel:DWORD dst_unused:UNUSED_PAD src0_sel:BYTE_0 src1_sel:DWORD
	v_lshlrev_b32_e32 v2, 4, v2
	s_clause 0x2
	global_load_dwordx4 v[218:221], v2, s[8:9]
	global_load_dwordx4 v[230:233], v1, s[8:9] offset:32
	global_load_dwordx4 v[234:237], v0, s[8:9] offset:32
	ds_read2_b64 v[238:241], v169 offset0:10 offset1:59
	global_load_dwordx4 v[242:245], v2, s[8:9] offset:32
	s_waitcnt vmcnt(23) lgkmcnt(2)
	v_mul_f64 v[102:103], v[214:215], v[100:101]
	v_mul_f64 v[100:101], v[92:93], v[100:101]
	s_waitcnt vmcnt(22)
	v_mul_f64 v[170:171], v[216:217], v[107:108]
	s_waitcnt vmcnt(21) lgkmcnt(1)
	v_mul_f64 v[200:201], v[222:223], v[111:112]
	v_mul_f64 v[107:108], v[94:95], v[107:108]
	s_waitcnt vmcnt(20)
	v_mul_f64 v[246:247], v[224:225], v[115:116]
	v_mul_f64 v[111:112], v[88:89], v[111:112]
	v_fma_f64 v[250:251], v[92:93], v[98:99], v[102:103]
	v_fma_f64 v[252:253], v[214:215], v[98:99], -v[100:101]
	v_mul_f64 v[98:99], v[90:91], v[115:116]
	s_waitcnt vmcnt(18) lgkmcnt(0)
	v_mul_f64 v[115:116], v[238:239], v[119:120]
	v_mul_f64 v[119:120], v[84:85], v[119:120]
	v_fma_f64 v[100:101], v[94:95], v[105:106], v[170:171]
	v_fma_f64 v[190:191], v[88:89], v[109:110], v[200:201]
	v_fma_f64 v[102:103], v[216:217], v[105:106], -v[107:108]
	global_load_dwordx4 v[105:108], v0, s[8:9] offset:64
	v_fma_f64 v[180:181], v[90:91], v[113:114], v[246:247]
	global_load_dwordx4 v[88:91], v1, s[8:9] offset:64
	v_mul_u32_u24_sdwa v0, v172, v3 dst_sel:DWORD dst_unused:UNUSED_PAD src0_sel:WORD_0 src1_sel:DWORD
	v_fma_f64 v[196:197], v[222:223], v[109:110], -v[111:112]
	v_mul_f64 v[109:110], v[240:241], v[123:124]
	ds_read2_b64 v[92:95], v198 offset0:136 offset1:185
	global_load_dwordx4 v[214:217], v2, s[8:9] offset:64
	v_lshrrev_b32_e32 v0, 16, v0
	v_sub_nc_u16 v1, v172, v0
	v_fma_f64 v[170:171], v[224:225], v[113:114], -v[98:99]
	v_mul_f64 v[98:99], v[86:87], v[123:124]
	v_fma_f64 v[175:176], v[84:85], v[117:118], v[115:116]
	v_fma_f64 v[177:178], v[238:239], v[117:118], -v[119:120]
	v_lshrrev_b16 v1, 1, v1
	s_waitcnt vmcnt(20)
	v_mul_f64 v[113:114], v[80:81], v[127:128]
	global_load_dwordx4 v[222:225], v2, s[8:9] offset:16
	v_add_nc_u16 v0, v1, v0
	s_waitcnt lgkmcnt(0)
	v_mul_f64 v[111:112], v[92:93], v[127:128]
	v_fma_f64 v[167:168], v[86:87], v[121:122], v[109:110]
	ds_read2_b64 v[84:87], v12 offset0:54 offset1:103
	v_lshrrev_b16 v200, 2, v0
	s_waitcnt vmcnt(20)
	v_mul_f64 v[109:110], v[94:95], v[131:132]
	v_mul_f64 v[115:116], v[82:83], v[131:132]
	v_mul_lo_u16 v4, v200, 7
	v_fma_f64 v[173:174], v[240:241], v[121:122], -v[98:99]
	global_load_dwordx4 v[238:241], v2, s[8:9] offset:48
	v_sub_nc_u16 v201, v172, v4
	v_fma_f64 v[0:1], v[92:93], v[125:126], -v[113:114]
	v_mul_u32_u24_sdwa v4, v201, v104 dst_sel:DWORD dst_unused:UNUSED_PAD src0_sel:WORD_0 src1_sel:DWORD
	v_fma_f64 v[14:15], v[80:81], v[125:126], v[111:112]
	s_waitcnt vmcnt(20) lgkmcnt(0)
	v_mul_f64 v[80:81], v[84:85], v[135:136]
	v_mul_f64 v[111:112], v[76:77], v[135:136]
	v_fma_f64 v[98:99], v[82:83], v[129:130], v[109:110]
	v_lshlrev_b32_e32 v109, 4, v4
	v_fma_f64 v[92:93], v[94:95], v[129:130], -v[115:116]
	s_waitcnt vmcnt(19)
	v_mul_f64 v[94:95], v[86:87], v[139:140]
	s_waitcnt vmcnt(16)
	v_mul_f64 v[116:117], v[74:75], v[147:148]
	s_clause 0x1
	global_load_dwordx4 v[126:129], v109, s[8:9] offset:16
	global_load_dwordx4 v[246:249], v109, s[8:9] offset:80
	v_fma_f64 v[130:131], v[76:77], v[133:134], v[80:81]
	ds_read2_b64 v[80:83], v5 offset0:100 offset1:149
	v_mul_f64 v[76:77], v[78:79], v[139:140]
	v_fma_f64 v[84:85], v[84:85], v[133:134], -v[111:112]
	v_fma_f64 v[110:111], v[78:79], v[137:138], v[94:95]
	v_mul_f64 v[94:95], v[72:73], v[143:144]
	s_waitcnt lgkmcnt(0)
	v_mul_f64 v[78:79], v[80:81], v[143:144]
	v_fma_f64 v[116:117], v[82:83], v[145:146], -v[116:117]
	v_fma_f64 v[112:113], v[86:87], v[137:138], -v[76:77]
	v_mul_f64 v[86:87], v[82:83], v[147:148]
	v_mul_f64 v[82:83], v[68:69], v[151:152]
	global_load_dwordx4 v[134:137], v109, s[8:9] offset:48
	v_fma_f64 v[147:148], v[72:73], v[141:142], v[78:79]
	ds_read2_b64 v[76:79], v179 offset0:16 offset1:65
	v_fma_f64 v[140:141], v[80:81], v[141:142], -v[94:95]
	v_mov_b32_e32 v95, v179
	v_fma_f64 v[114:115], v[74:75], v[145:146], v[86:87]
	global_load_dwordx4 v[72:75], v2, s[8:9] offset:80
	v_add_nc_u32_e32 v179, 0x126, v10
	s_waitcnt lgkmcnt(0)
	v_mul_f64 v[80:81], v[76:77], v[151:152]
	s_waitcnt vmcnt(19)
	v_mul_f64 v[86:87], v[78:79], v[155:156]
	v_fma_f64 v[120:121], v[76:77], v[149:150], -v[82:83]
	v_mul_f64 v[76:77], v[70:71], v[155:156]
	s_waitcnt vmcnt(16)
	v_mul_f64 v[82:83], v[62:63], v[208:209]
	v_fma_f64 v[118:119], v[68:69], v[149:150], v[80:81]
	v_fma_f64 v[132:133], v[70:71], v[153:154], v[86:87]
	ds_read2_b64 v[68:71], v6 offset0:190 offset1:239
	v_fma_f64 v[142:143], v[78:79], v[153:154], -v[76:77]
	v_mul_f64 v[78:79], v[64:65], v[159:160]
	v_mul_u32_u24_sdwa v86, v179, v3 dst_sel:DWORD dst_unused:UNUSED_PAD src0_sel:WORD_0 src1_sel:DWORD
	s_waitcnt lgkmcnt(0)
	v_mul_f64 v[76:77], v[68:69], v[159:160]
	v_mul_f64 v[80:81], v[70:71], v[163:164]
	v_fma_f64 v[122:123], v[68:69], v[157:158], -v[78:79]
	v_fma_f64 v[124:125], v[64:65], v[157:158], v[76:77]
	v_mul_f64 v[64:65], v[66:67], v[163:164]
	ds_read2_b64 v[76:79], v169 offset0:108 offset1:157
	v_fma_f64 v[138:139], v[66:67], v[161:162], v[80:81]
	s_waitcnt vmcnt(15)
	v_mul_f64 v[80:81], v[60:61], v[204:205]
	s_waitcnt lgkmcnt(0)
	v_mul_f64 v[68:69], v[76:77], v[204:205]
	v_fma_f64 v[144:145], v[70:71], v[161:162], -v[64:65]
	v_mul_f64 v[70:71], v[78:79], v[208:209]
	ds_read2_b64 v[64:67], v9 offset0:106 offset1:155
	v_fma_f64 v[154:155], v[78:79], v[206:207], -v[82:83]
	v_fma_f64 v[4:5], v[76:77], v[202:203], -v[80:81]
	s_waitcnt vmcnt(14)
	v_mul_f64 v[76:77], v[56:57], v[212:213]
	ds_read2_b64 v[80:83], v8 offset0:70 offset1:119
	v_mov_b32_e32 v9, v8
	v_add_nc_u32_e32 v8, 0x1c00, v166
	v_fma_f64 v[150:151], v[62:63], v[206:207], v[70:71]
	global_load_dwordx4 v[204:207], v109, s[8:9]
	v_fma_f64 v[2:3], v[60:61], v[202:203], v[68:69]
	v_lshrrev_b32_e32 v60, 16, v86
	s_waitcnt lgkmcnt(1)
	v_mul_f64 v[68:69], v[64:65], v[212:213]
	s_waitcnt vmcnt(13)
	v_mul_f64 v[70:71], v[66:67], v[220:221]
	v_fma_f64 v[156:157], v[64:65], v[210:211], -v[76:77]
	v_sub_nc_u16 v61, v179, v60
	v_lshrrev_b16 v61, 1, v61
	v_add_nc_u16 v78, v61, v60
	ds_read2_b64 v[60:63], v12 offset0:152 offset1:201
	v_lshrrev_b16 v202, 2, v78
	v_mul_f64 v[78:79], v[58:59], v[220:221]
	v_fma_f64 v[152:153], v[56:57], v[210:211], v[68:69]
	v_fma_f64 v[68:69], v[58:59], v[218:219], v[70:71]
	v_mul_lo_u16 v56, v202, 7
	s_waitcnt vmcnt(12)
	v_mul_f64 v[70:71], v[52:53], v[232:233]
	v_sub_nc_u16 v203, v179, v56
	v_mul_u32_u24_sdwa v56, v203, v104 dst_sel:DWORD dst_unused:UNUSED_PAD src0_sel:WORD_0 src1_sel:DWORD
	s_waitcnt lgkmcnt(0)
	v_mul_f64 v[76:77], v[60:61], v[232:233]
	v_lshlrev_b32_e32 v94, 4, v56
	v_fma_f64 v[64:65], v[66:67], v[218:219], -v[78:79]
	s_waitcnt vmcnt(10)
	v_mul_f64 v[66:67], v[62:63], v[244:245]
	s_clause 0x1
	global_load_dwordx4 v[56:59], v94, s[8:9]
	global_load_dwordx4 v[208:211], v94, s[8:9] offset:16
	v_fma_f64 v[160:161], v[60:61], v[230:231], -v[70:71]
	v_fma_f64 v[158:159], v[52:53], v[230:231], v[76:77]
	v_mul_f64 v[52:53], v[54:55], v[244:245]
	v_fma_f64 v[78:79], v[54:55], v[242:243], v[66:67]
	s_waitcnt vmcnt(10)
	v_mul_f64 v[60:61], v[80:81], v[90:91]
	v_mul_f64 v[66:67], v[44:45], v[90:91]
	s_waitcnt vmcnt(9)
	v_mul_f64 v[70:71], v[82:83], v[216:217]
	v_mul_f64 v[90:91], v[46:47], v[216:217]
	global_load_dwordx4 v[216:219], v94, s[8:9] offset:32
	v_fma_f64 v[76:77], v[62:63], v[242:243], -v[52:53]
	ds_read2_b64 v[52:55], v95 offset0:114 offset1:163
	v_fma_f64 v[162:163], v[44:45], v[88:89], v[60:61]
	ds_read2_b64 v[60:63], v13 offset0:32 offset1:81
	v_fma_f64 v[164:165], v[80:81], v[88:89], -v[66:67]
	v_fma_f64 v[86:87], v[46:47], v[214:215], v[70:71]
	v_fma_f64 v[80:81], v[82:83], v[214:215], -v[90:91]
	global_load_dwordx4 v[212:215], v109, s[8:9] offset:32
	s_waitcnt vmcnt(10) lgkmcnt(1)
	v_mul_f64 v[44:45], v[52:53], v[224:225]
	v_mul_f64 v[46:47], v[40:41], v[224:225]
	s_waitcnt vmcnt(9)
	v_mul_f64 v[70:71], v[36:37], v[240:241]
	s_waitcnt lgkmcnt(0)
	v_mul_f64 v[66:67], v[60:61], v[240:241]
	v_fma_f64 v[90:91], v[40:41], v[222:223], v[44:45]
	v_fma_f64 v[82:83], v[52:53], v[222:223], -v[46:47]
	ds_read2_b64 v[44:47], v169 offset0:206 offset1:255
	v_fma_f64 v[224:225], v[60:61], v[238:239], -v[70:71]
	s_waitcnt vmcnt(8)
	v_mul_f64 v[40:41], v[54:55], v[128:129]
	v_fma_f64 v[88:89], v[36:37], v[238:239], v[66:67]
	v_mul_f64 v[36:37], v[42:43], v[128:129]
	v_fma_f64 v[40:41], v[42:43], v[126:127], v[40:41]
	v_fma_f64 v[42:43], v[54:55], v[126:127], -v[36:37]
	s_clause 0x3
	global_load_dwordx4 v[126:129], v94, s[8:9] offset:48
	global_load_dwordx4 v[220:223], v109, s[8:9] offset:64
	;; [unrolled: 1-line block ×4, first 2 shown]
	s_waitcnt vmcnt(10)
	v_mul_f64 v[52:53], v[62:63], v[136:137]
	v_mul_f64 v[36:37], v[38:39], v[136:137]
	s_waitcnt vmcnt(9)
	v_mul_f64 v[54:55], v[32:33], v[74:75]
	v_fma_f64 v[38:39], v[38:39], v[134:135], v[52:53]
	s_waitcnt lgkmcnt(0)
	v_mul_f64 v[52:53], v[44:45], v[74:75]
	v_fma_f64 v[36:37], v[62:63], v[134:135], -v[36:37]
	v_fma_f64 v[134:135], v[44:45], v[72:73], -v[54:55]
	v_fma_f64 v[242:243], v[32:33], v[72:73], v[52:53]
	v_mul_f64 v[32:33], v[46:47], v[248:249]
	ds_read2_b64 v[70:73], v8 offset0:84 offset1:133
	v_fma_f64 v[54:55], v[34:35], v[246:247], v[32:33]
	v_mul_f64 v[32:33], v[34:35], v[248:249]
	v_mov_b32_e32 v248, v13
	v_mov_b32_e32 v249, v9
	v_fma_f64 v[46:47], v[46:47], v[246:247], -v[32:33]
	ds_read2_b64 v[32:35], v7 offset0:76 offset1:125
	v_add_nc_u32_e32 v247, 0x2400, v166
	v_add_f64 v[6:7], v[0:1], -v[173:174]
	s_waitcnt vmcnt(8) lgkmcnt(0)
	v_mul_f64 v[44:45], v[32:33], v[206:207]
	v_mul_f64 v[52:53], v[28:29], v[206:207]
	v_fma_f64 v[60:61], v[28:29], v[204:205], v[44:45]
	v_fma_f64 v[52:53], v[32:33], v[204:205], -v[52:53]
	ds_read2_b64 v[204:207], v13 offset0:130 offset1:179
	s_waitcnt vmcnt(7)
	v_mul_f64 v[28:29], v[34:35], v[58:59]
	v_mul_f64 v[32:33], v[30:31], v[58:59]
	s_waitcnt vmcnt(6)
	v_mul_f64 v[44:45], v[70:71], v[210:211]
	v_fma_f64 v[30:31], v[30:31], v[56:57], v[28:29]
	v_fma_f64 v[28:29], v[34:35], v[56:57], -v[32:33]
	v_mul_f64 v[32:33], v[72:73], v[236:237]
	v_mul_f64 v[34:35], v[22:23], v[236:237]
	ds_read2_b64 v[56:59], v247 offset0:122 offset1:171
	s_waitcnt vmcnt(5)
	v_mul_f64 v[94:95], v[26:27], v[218:219]
	v_fma_f64 v[62:63], v[22:23], v[234:235], v[32:33]
	v_mul_f64 v[22:23], v[20:21], v[210:211]
	v_fma_f64 v[66:67], v[72:73], v[234:235], -v[34:35]
	v_fma_f64 v[34:35], v[20:21], v[208:209], v[44:45]
	s_waitcnt vmcnt(4) lgkmcnt(0)
	v_mul_f64 v[44:45], v[56:57], v[214:215]
	v_mul_f64 v[72:73], v[24:25], v[214:215]
	v_fma_f64 v[32:33], v[70:71], v[208:209], -v[22:23]
	v_mul_f64 v[70:71], v[58:59], v[218:219]
	ds_read2_b64 v[20:23], v198 offset0:38 offset1:87
	v_add_f64 v[208:209], v[62:63], v[190:191]
	v_add_f64 v[62:63], v[190:191], -v[62:63]
	v_mov_b32_e32 v191, v255
	v_add_nc_u32_e32 v255, 0x1000, v166
	v_fma_f64 v[74:75], v[24:25], v[212:213], v[44:45]
	v_fma_f64 v[24:25], v[58:59], v[216:217], -v[94:95]
	v_mul_f64 v[94:95], v[206:207], v[107:108]
	v_mul_f64 v[107:108], v[18:19], v[107:108]
	v_fma_f64 v[72:73], v[56:57], v[212:213], -v[72:73]
	ds_read2_b64 v[56:59], v9 offset0:168 offset1:217
	s_waitcnt lgkmcnt(1)
	v_mul_f64 v[44:45], v[22:23], v[228:229]
	v_fma_f64 v[26:27], v[26:27], v[216:217], v[70:71]
	v_mul_f64 v[70:71], v[186:187], v[228:229]
	v_fma_f64 v[136:137], v[186:187], v[226:227], v[44:45]
	v_fma_f64 v[186:187], v[18:19], v[105:106], v[94:95]
	v_fma_f64 v[70:71], v[22:23], v[226:227], -v[70:71]
	s_waitcnt vmcnt(3)
	v_mul_f64 v[22:23], v[204:205], v[128:129]
	v_mul_f64 v[44:45], v[16:17], v[128:129]
	v_fma_f64 v[104:105], v[206:207], v[105:106], -v[107:108]
	s_waitcnt vmcnt(2) lgkmcnt(0)
	v_mul_f64 v[94:95], v[56:57], v[222:223]
	v_mul_f64 v[106:107], v[48:49], v[222:223]
	s_waitcnt vmcnt(0)
	v_mul_f64 v[216:217], v[96:97], v[240:241]
	v_add_f64 v[108:109], v[136:137], v[175:176]
	v_add_f64 v[136:137], v[136:137], -v[175:176]
	v_fma_f64 v[16:17], v[16:17], v[126:127], v[22:23]
	v_mul_f64 v[22:23], v[58:59], v[232:233]
	v_fma_f64 v[18:19], v[204:205], v[126:127], -v[44:45]
	v_add_f64 v[126:127], v[70:71], v[177:178]
	v_add_f64 v[204:205], v[250:251], v[186:187]
	;; [unrolled: 1-line block ×3, first 2 shown]
	v_fma_f64 v[128:129], v[48:49], v[220:221], v[94:95]
	v_fma_f64 v[94:95], v[56:57], v[220:221], -v[106:107]
	v_mul_f64 v[44:45], v[50:51], v[232:233]
	v_add_f64 v[106:107], v[250:251], -v[186:187]
	v_add_f64 v[104:105], v[252:253], -v[104:105]
	ds_read_b64 v[48:49], v166 offset:18816
	v_add_f64 v[70:71], v[70:71], -v[177:178]
	v_fma_f64 v[22:23], v[50:51], v[230:231], v[22:23]
	v_add_f64 v[50:51], v[66:67], v[196:197]
	v_add_f64 v[196:197], v[196:197], -v[66:67]
	v_add_f64 v[186:187], v[204:205], v[108:109]
	v_add_f64 v[210:211], v[206:207], v[126:127]
	v_add_f64 v[66:67], v[108:109], -v[208:209]
	v_add_f64 v[212:213], v[208:209], -v[204:205]
	v_add_f64 v[108:109], v[204:205], -v[108:109]
	s_waitcnt lgkmcnt(0)
	v_mul_f64 v[214:215], v[48:49], v[240:241]
	v_fma_f64 v[44:45], v[58:59], v[230:231], -v[44:45]
	ds_read2_b64 v[56:59], v166 offset1:49
	v_add_f64 v[177:178], v[62:63], v[106:107]
	v_add_f64 v[175:176], v[126:127], -v[50:51]
	v_add_f64 v[218:219], v[50:51], -v[206:207]
	v_add_f64 v[186:187], v[208:209], v[186:187]
	v_add_f64 v[204:205], v[50:51], v[210:211]
	;; [unrolled: 1-line block ×3, first 2 shown]
	v_mul_f64 v[210:211], v[66:67], s[4:5]
	v_mul_f64 v[220:221], v[212:213], s[12:13]
	v_fma_f64 v[66:67], v[96:97], v[238:239], v[214:215]
	v_fma_f64 v[50:51], v[48:49], v[238:239], -v[216:217]
	v_add_f64 v[48:49], v[206:207], -v[126:127]
	v_add_f64 v[126:127], v[62:63], -v[106:107]
	;; [unrolled: 1-line block ×7, first 2 shown]
	v_add_f64 v[136:137], v[177:178], v[136:137]
	v_add_f64 v[177:178], v[14:15], v[167:168]
	v_mul_f64 v[214:215], v[175:176], s[4:5]
	v_mul_f64 v[216:217], v[218:219], s[12:13]
	v_add_f64 v[175:176], v[192:193], v[186:187]
	s_waitcnt lgkmcnt(0)
	v_add_f64 v[96:97], v[56:57], v[204:205]
	v_add_f64 v[12:13], v[208:209], v[70:71]
	v_fma_f64 v[56:57], v[212:213], s[12:13], v[210:211]
	v_add_f64 v[208:209], v[0:1], v[173:174]
	v_add_f64 v[212:213], v[102:103], v[140:141]
	v_fma_f64 v[70:71], v[108:109], s[6:7], -v[220:221]
	v_fma_f64 v[108:109], v[108:109], s[18:19], -v[210:211]
	v_add_f64 v[210:211], v[100:101], v[147:148]
	v_mul_f64 v[126:127], v[126:127], s[16:17]
	v_mul_f64 v[206:207], v[206:207], s[16:17]
	;; [unrolled: 1-line block ×3, first 2 shown]
	v_add_f64 v[100:101], v[100:101], -v[147:148]
	v_add_f64 v[102:103], v[102:103], -v[140:141]
	v_add_f64 v[140:141], v[130:131], v[180:181]
	v_add_f64 v[146:147], v[84:85], v[170:171]
	v_add_f64 v[84:85], v[170:171], -v[84:85]
	v_add_f64 v[130:131], v[180:181], -v[130:131]
	;; [unrolled: 1-line block ×3, first 2 shown]
	v_fma_f64 v[218:219], v[218:219], s[12:13], v[214:215]
	v_fma_f64 v[216:217], v[48:49], s[6:7], -v[216:217]
	v_fma_f64 v[48:49], v[48:49], s[18:19], -v[214:215]
	v_mul_f64 v[214:215], v[106:107], s[0:1]
	v_fma_f64 v[186:187], v[186:187], s[10:11], v[175:176]
	v_fma_f64 v[204:205], v[204:205], s[10:11], v[96:97]
	v_add_f64 v[170:171], v[212:213], v[208:209]
	v_add_f64 v[148:149], v[210:211], v[177:178]
	v_fma_f64 v[106:107], v[106:107], s[0:1], -v[126:127]
	v_fma_f64 v[104:105], v[104:105], s[0:1], -v[206:207]
	v_fma_f64 v[180:181], v[196:197], s[20:21], v[206:207]
	v_fma_f64 v[126:127], v[62:63], s[20:21], v[126:127]
	v_fma_f64 v[173:174], v[196:197], s[22:23], -v[173:174]
	v_add_f64 v[220:221], v[100:101], -v[0:1]
	v_fma_f64 v[62:63], v[62:63], s[22:23], -v[214:215]
	v_add_f64 v[196:197], v[56:57], v[186:187]
	v_add_f64 v[214:215], v[218:219], v[204:205]
	;; [unrolled: 1-line block ×7, first 2 shown]
	v_add_f64 v[170:171], v[140:141], -v[210:211]
	v_add_f64 v[204:205], v[146:147], -v[212:213]
	;; [unrolled: 1-line block ×3, first 2 shown]
	v_add_f64 v[148:149], v[140:141], v[148:149]
	v_add_f64 v[48:49], v[177:178], -v[140:141]
	v_fma_f64 v[104:105], v[12:13], s[14:15], v[104:105]
	v_fma_f64 v[106:107], v[136:137], s[14:15], v[106:107]
	;; [unrolled: 1-line block ×3, first 2 shown]
	v_add_f64 v[177:178], v[210:211], -v[177:178]
	v_fma_f64 v[126:127], v[136:137], s[14:15], v[126:127]
	v_add_f64 v[140:141], v[102:103], -v[6:7]
	v_add_f64 v[56:57], v[84:85], -v[102:103]
	;; [unrolled: 1-line block ×3, first 2 shown]
	v_fma_f64 v[180:181], v[12:13], s[14:15], v[180:181]
	v_fma_f64 v[218:219], v[136:137], s[14:15], v[62:63]
	v_add_f64 v[210:211], v[212:213], -v[208:209]
	v_add_f64 v[208:209], v[130:131], v[100:101]
	v_add_f64 v[212:213], v[84:85], v[102:103]
	v_add_f64 v[84:85], v[6:7], -v[84:85]
	v_add_f64 v[130:131], v[0:1], -v[130:131]
	v_add_f64 v[100:101], v[58:59], v[167:168]
	v_mul_f64 v[222:223], v[170:171], s[12:13]
	v_mul_f64 v[226:227], v[204:205], s[12:13]
	;; [unrolled: 1-line block ×3, first 2 shown]
	v_add_f64 v[12:13], v[194:195], v[148:149]
	v_mul_f64 v[228:229], v[48:49], s[4:5]
	v_add_f64 v[58:59], v[70:71], -v[104:105]
	v_add_f64 v[14:15], v[104:105], v[70:71]
	v_add_f64 v[102:103], v[106:107], v[206:207]
	v_add_f64 v[104:105], v[206:207], -v[106:107]
	v_add_f64 v[62:63], v[173:174], v[108:109]
	v_add_f64 v[48:49], v[108:109], -v[173:174]
	v_mul_f64 v[230:231], v[140:141], s[0:1]
	v_mul_f64 v[232:233], v[56:57], s[16:17]
	;; [unrolled: 1-line block ×3, first 2 shown]
	v_add_f64 v[56:57], v[180:181], v[196:197]
	v_add_f64 v[106:107], v[186:187], -v[218:219]
	v_add_f64 v[0:1], v[208:209], v[0:1]
	v_add_f64 v[6:7], v[212:213], v[6:7]
	v_mul_f64 v[146:147], v[220:221], s[0:1]
	v_add_f64 v[108:109], v[218:219], v[186:187]
	v_add_f64 v[70:71], v[196:197], -v[180:181]
	v_fma_f64 v[167:168], v[167:168], s[10:11], v[100:101]
	v_fma_f64 v[173:174], v[177:178], s[6:7], -v[222:223]
	v_fma_f64 v[208:209], v[210:211], s[6:7], -v[226:227]
	v_fma_f64 v[222:223], v[204:205], s[12:13], v[136:137]
	ds_read2_b64 v[204:207], v166 offset0:98 offset1:147
	s_clause 0x3
	buffer_load_dword v192, off, s[28:31], 0 offset:104
	buffer_load_dword v193, off, s[28:31], 0 offset:108
	;; [unrolled: 1-line block ×4, first 2 shown]
	v_fma_f64 v[148:149], v[148:149], s[10:11], v[12:13]
	v_fma_f64 v[177:178], v[177:178], s[18:19], -v[228:229]
	v_add_f64 v[180:181], v[98:99], v[2:3]
	v_add_f64 v[186:187], v[118:119], v[114:115]
	;; [unrolled: 1-line block ×4, first 2 shown]
	v_fma_f64 v[212:213], v[84:85], s[22:23], -v[230:231]
	v_fma_f64 v[140:141], v[140:141], s[0:1], -v[232:233]
	;; [unrolled: 1-line block ×3, first 2 shown]
	v_fma_f64 v[170:171], v[170:171], s[12:13], v[228:229]
	v_fma_f64 v[136:137], v[210:211], s[18:19], -v[136:137]
	v_add_f64 v[210:211], v[110:111], v[124:125]
	v_fma_f64 v[216:217], v[130:131], s[20:21], v[216:217]
	v_fma_f64 v[84:85], v[84:85], s[20:21], v[232:233]
	v_fma_f64 v[130:131], v[130:131], s[22:23], -v[146:147]
	v_add_f64 v[118:119], v[118:119], -v[114:115]
	v_add_f64 v[120:121], v[120:121], -v[116:117]
	;; [unrolled: 1-line block ×6, first 2 shown]
	v_add_f64 v[110:111], v[126:127], v[214:215]
	v_add_f64 v[146:147], v[173:174], v[148:149]
	;; [unrolled: 1-line block ×5, first 2 shown]
	v_fma_f64 v[208:209], v[6:7], s[14:15], v[212:213]
	v_fma_f64 v[140:141], v[6:7], s[14:15], v[140:141]
	;; [unrolled: 1-line block ×3, first 2 shown]
	v_add_f64 v[220:221], v[112:113], v[122:123]
	v_add_f64 v[122:123], v[218:219], v[196:197]
	v_add_f64 v[112:113], v[214:215], -v[126:127]
	v_add_f64 v[126:127], v[170:171], v[148:149]
	v_add_f64 v[148:149], v[180:181], -v[210:211]
	v_add_f64 v[170:171], v[210:211], -v[186:187]
	v_add_f64 v[214:215], v[222:223], v[167:168]
	v_add_f64 v[167:168], v[136:137], v[167:168]
	v_fma_f64 v[222:223], v[0:1], s[14:15], v[130:131]
	v_fma_f64 v[0:1], v[0:1], s[14:15], v[216:217]
	;; [unrolled: 1-line block ×3, first 2 shown]
	v_add_f64 v[84:85], v[186:187], -v[180:181]
	v_add_f64 v[180:181], v[228:229], v[120:121]
	v_add_f64 v[216:217], v[228:229], -v[120:121]
	v_add_f64 v[98:99], v[208:209], v[177:178]
	;; [unrolled: 2-line block ×3, first 2 shown]
	v_add_f64 v[92:93], v[140:141], v[146:147]
	v_add_f64 v[116:117], v[173:174], -v[212:213]
	v_add_f64 v[146:147], v[226:227], v[118:119]
	v_add_f64 v[173:174], v[210:211], v[124:125]
	;; [unrolled: 1-line block ×3, first 2 shown]
	v_add_f64 v[210:211], v[196:197], -v[220:221]
	v_add_f64 v[212:213], v[220:221], -v[218:219]
	;; [unrolled: 1-line block ×5, first 2 shown]
	v_mul_f64 v[230:231], v[148:149], s[4:5]
	v_mul_f64 v[232:233], v[170:171], s[12:13]
	v_add_f64 v[208:209], v[226:227], -v[118:119]
	v_add_f64 v[118:119], v[167:168], -v[222:223]
	v_add_f64 v[120:121], v[222:223], v[167:168]
	v_add_f64 v[148:149], v[6:7], v[126:127]
	v_add_f64 v[140:141], v[126:127], -v[6:7]
	v_add_f64 v[124:125], v[214:215], -v[0:1]
	v_add_f64 v[122:123], v[0:1], v[214:215]
	v_add_f64 v[0:1], v[218:219], -v[196:197]
	v_add_f64 v[6:7], v[2:3], -v[226:227]
	;; [unrolled: 1-line block ×3, first 2 shown]
	v_add_f64 v[4:5], v[180:181], v[4:5]
	v_mul_f64 v[196:197], v[216:217], s[16:17]
	v_add_f64 v[2:3], v[146:147], v[2:3]
	v_add_f64 v[216:217], v[132:133], v[162:163]
	s_waitcnt lgkmcnt(0)
	v_add_f64 v[126:127], v[204:205], v[186:187]
	v_mul_f64 v[146:147], v[210:211], s[4:5]
	v_mul_f64 v[180:181], v[212:213], s[12:13]
	;; [unrolled: 1-line block ×3, first 2 shown]
	v_add_f64 v[218:219], v[156:157], -v[154:155]
	v_mul_f64 v[214:215], v[177:178], s[0:1]
	v_fma_f64 v[170:171], v[170:171], s[12:13], v[230:231]
	v_fma_f64 v[210:211], v[84:85], s[6:7], -v[232:233]
	v_fma_f64 v[84:85], v[84:85], s[18:19], -v[230:231]
	v_mul_f64 v[208:209], v[208:209], s[16:17]
	v_add_f64 v[162:163], v[132:133], -v[162:163]
	v_add_f64 v[226:227], v[138:139], -v[158:159]
	v_fma_f64 v[186:187], v[186:187], s[10:11], v[126:127]
	v_fma_f64 v[212:213], v[212:213], s[12:13], v[146:147]
	v_fma_f64 v[180:181], v[0:1], s[6:7], -v[180:181]
	v_fma_f64 v[0:1], v[0:1], s[18:19], -v[146:147]
	;; [unrolled: 1-line block ×5, first 2 shown]
	v_add_f64 v[214:215], v[152:153], v[150:151]
	v_fma_f64 v[167:168], v[167:168], s[20:21], v[196:197]
	v_fma_f64 v[6:7], v[6:7], s[20:21], v[208:209]
	v_fma_f64 v[208:209], v[220:221], s[0:1], -v[208:209]
	v_add_f64 v[220:221], v[144:145], -v[160:161]
	v_add_f64 v[160:161], v[160:161], v[144:145]
	v_add_f64 v[180:181], v[180:181], v[186:187]
	;; [unrolled: 1-line block ×3, first 2 shown]
	v_fma_f64 v[146:147], v[4:5], s[14:15], v[146:147]
	v_fma_f64 v[177:178], v[2:3], s[14:15], v[177:178]
	;; [unrolled: 1-line block ×3, first 2 shown]
	v_add_f64 v[186:187], v[212:213], v[186:187]
	v_add_f64 v[212:213], v[152:153], -v[150:151]
	v_fma_f64 v[4:5], v[4:5], s[14:15], v[167:168]
	v_fma_f64 v[208:209], v[2:3], s[14:15], v[208:209]
	;; [unrolled: 1-line block ×3, first 2 shown]
	v_add_f64 v[132:133], v[0:1], -v[177:178]
	v_add_f64 v[144:145], v[177:178], v[0:1]
	v_add_f64 v[0:1], v[216:217], -v[214:215]
	s_waitcnt vmcnt(2)
	v_add_f64 v[8:9], v[192:193], v[173:174]
	v_fma_f64 v[173:174], v[173:174], s[10:11], v[8:9]
	v_add_f64 v[170:171], v[170:171], v[173:174]
	v_add_f64 v[196:197], v[210:211], v[173:174]
	;; [unrolled: 1-line block ×5, first 2 shown]
	v_add_f64 v[164:165], v[142:143], -v[164:165]
	v_add_f64 v[142:143], v[158:159], v[138:139]
	v_add_f64 v[156:157], v[216:217], v[214:215]
	v_add_f64 v[138:139], v[208:209], v[180:181]
	v_add_f64 v[154:155], v[196:197], -v[146:147]
	v_add_f64 v[152:153], v[204:205], v[84:85]
	v_add_f64 v[158:159], v[84:85], -v[204:205]
	v_add_f64 v[222:223], v[210:211], v[173:174]
	v_add_f64 v[84:85], v[220:221], v[164:165]
	v_add_f64 v[167:168], v[142:143], -v[216:217]
	v_add_f64 v[6:7], v[142:143], v[156:157]
	v_add_f64 v[156:157], v[146:147], v[196:197]
	v_add_f64 v[146:147], v[214:215], -v[142:143]
	v_add_f64 v[142:143], v[180:181], -v[208:209]
	v_add_f64 v[180:181], v[164:165], -v[218:219]
	v_add_f64 v[150:151], v[220:221], -v[164:165]
	v_add_f64 v[177:178], v[160:161], -v[210:211]
	v_add_f64 v[196:197], v[226:227], -v[162:163]
	v_add_f64 v[204:205], v[162:163], -v[212:213]
	v_add_f64 v[162:163], v[226:227], v[162:163]
	v_add_f64 v[216:217], v[212:213], -v[226:227]
	v_add_f64 v[164:165], v[160:161], v[222:223]
	v_add_f64 v[160:161], v[173:174], -v[160:161]
	v_mul_f64 v[208:209], v[167:168], s[12:13]
	s_waitcnt vmcnt(0)
	v_add_f64 v[245:246], v[194:195], v[6:7]
	v_add_f64 v[173:174], v[210:211], -v[173:174]
	v_mul_f64 v[146:147], v[146:147], s[4:5]
	v_add_f64 v[210:211], v[218:219], -v[220:221]
	v_add_f64 v[84:85], v[84:85], v[218:219]
	v_mul_f64 v[218:219], v[150:151], s[16:17]
	v_mul_f64 v[214:215], v[180:181], s[0:1]
	;; [unrolled: 1-line block ×4, first 2 shown]
	v_add_f64 v[162:163], v[162:163], v[212:213]
	v_add_f64 v[222:223], v[186:187], -v[2:3]
	v_add_f64 v[150:151], v[206:207], v[164:165]
	v_mul_f64 v[206:207], v[177:178], s[12:13]
	v_mul_f64 v[160:161], v[160:161], s[4:5]
	v_fma_f64 v[6:7], v[6:7], s[10:11], v[245:246]
	v_fma_f64 v[208:209], v[0:1], s[6:7], -v[208:209]
	v_fma_f64 v[0:1], v[0:1], s[18:19], -v[146:147]
	v_fma_f64 v[146:147], v[167:168], s[12:13], v[146:147]
	v_fma_f64 v[180:181], v[180:181], s[0:1], -v[218:219]
	v_fma_f64 v[167:168], v[210:211], s[20:21], v[218:219]
	v_fma_f64 v[204:205], v[204:205], s[0:1], -v[196:197]
	v_fma_f64 v[212:213], v[216:217], s[22:23], -v[220:221]
	v_add_f64 v[220:221], v[4:5], v[170:171]
	v_add_f64 v[4:5], v[170:171], -v[4:5]
	v_fma_f64 v[170:171], v[216:217], s[20:21], v[196:197]
	v_add_f64 v[196:197], v[68:69], v[242:243]
	v_fma_f64 v[214:215], v[210:211], s[22:23], -v[214:215]
	v_add_f64 v[210:211], v[78:79], v[88:89]
	v_add_f64 v[218:219], v[82:83], v[80:81]
	v_add_f64 v[88:89], v[88:89], -v[78:79]
	v_add_f64 v[80:81], v[82:83], -v[80:81]
	;; [unrolled: 1-line block ×3, first 2 shown]
	v_fma_f64 v[164:165], v[164:165], s[10:11], v[150:151]
	v_fma_f64 v[206:207], v[173:174], s[6:7], -v[206:207]
	v_fma_f64 v[173:174], v[173:174], s[18:19], -v[160:161]
	v_fma_f64 v[160:161], v[177:178], s[12:13], v[160:161]
	v_add_f64 v[177:178], v[208:209], v[6:7]
	v_add_f64 v[208:209], v[90:91], v[86:87]
	;; [unrolled: 1-line block ×3, first 2 shown]
	v_add_f64 v[86:87], v[90:91], -v[86:87]
	v_add_f64 v[90:91], v[76:77], v[224:225]
	v_fma_f64 v[180:181], v[84:85], s[14:15], v[180:181]
	v_fma_f64 v[204:205], v[162:163], s[14:15], v[204:205]
	;; [unrolled: 1-line block ×3, first 2 shown]
	v_add_f64 v[6:7], v[146:147], v[6:7]
	v_fma_f64 v[78:79], v[84:85], s[14:15], v[167:168]
	v_add_f64 v[216:217], v[64:65], v[134:135]
	v_add_f64 v[146:147], v[2:3], v[186:187]
	v_fma_f64 v[214:215], v[84:85], s[14:15], v[214:215]
	v_fma_f64 v[84:85], v[162:163], s[14:15], v[170:171]
	v_add_f64 v[64:65], v[64:65], -v[134:135]
	v_add_f64 v[68:69], v[68:69], -v[242:243]
	v_add_f64 v[206:207], v[206:207], v[164:165]
	v_add_f64 v[173:174], v[173:174], v[164:165]
	;; [unrolled: 1-line block ×3, first 2 shown]
	v_add_f64 v[160:161], v[196:197], -v[210:211]
	v_add_f64 v[76:77], v[208:209], v[196:197]
	v_add_f64 v[162:163], v[210:211], -v[208:209]
	v_add_f64 v[134:135], v[208:209], -v[196:197]
	;; [unrolled: 1-line block ×4, first 2 shown]
	v_add_f64 v[177:178], v[180:181], v[177:178]
	v_add_f64 v[196:197], v[82:83], v[80:81]
	v_add_f64 v[167:168], v[216:217], -v[90:91]
	v_add_f64 v[224:225], v[218:219], v[216:217]
	v_add_f64 v[164:165], v[214:215], v[0:1]
	v_add_f64 v[0:1], v[0:1], -v[214:215]
	v_add_f64 v[214:215], v[88:89], v[86:87]
	v_add_f64 v[216:217], v[218:219], -v[216:217]
	;; [unrolled: 2-line block ×3, first 2 shown]
	v_add_f64 v[206:207], v[173:174], -v[212:213]
	v_add_f64 v[173:174], v[212:213], v[173:174]
	v_add_f64 v[212:213], v[78:79], v[6:7]
	v_add_f64 v[6:7], v[6:7], -v[78:79]
	v_add_f64 v[208:209], v[210:211], v[76:77]
	ds_read2_b64 v[76:79], v166 offset0:196 offset1:245
	s_clause 0x3
	buffer_load_dword v192, off, s[28:31], 0 offset:52
	buffer_load_dword v193, off, s[28:31], 0 offset:56
	;; [unrolled: 1-line block ×4, first 2 shown]
	v_add_f64 v[210:211], v[88:89], -v[86:87]
	v_mul_f64 v[160:161], v[160:161], s[4:5]
	v_mul_f64 v[226:227], v[162:163], s[12:13]
	v_add_f64 v[86:87], v[86:87], -v[68:69]
	v_mul_f64 v[167:168], v[167:168], s[4:5]
	v_mul_f64 v[218:219], v[170:171], s[12:13]
	v_add_f64 v[228:229], v[2:3], -v[84:85]
	v_add_f64 v[90:91], v[90:91], v[224:225]
	v_add_f64 v[224:225], v[84:85], v[2:3]
	v_add_f64 v[84:85], v[82:83], -v[80:81]
	v_add_f64 v[2:3], v[68:69], -v[88:89]
	v_add_f64 v[68:69], v[214:215], v[68:69]
	v_add_f64 v[82:83], v[64:65], -v[82:83]
	v_add_f64 v[80:81], v[80:81], -v[64:65]
	v_add_f64 v[64:65], v[196:197], v[64:65]
	v_mul_f64 v[196:197], v[210:211], s[16:17]
	v_fma_f64 v[162:163], v[162:163], s[12:13], v[160:161]
	v_fma_f64 v[210:211], v[134:135], s[6:7], -v[226:227]
	v_fma_f64 v[134:135], v[134:135], s[18:19], -v[160:161]
	v_mul_f64 v[160:161], v[86:87], s[0:1]
	v_fma_f64 v[170:171], v[170:171], s[12:13], v[167:168]
	v_fma_f64 v[214:215], v[216:217], s[6:7], -v[218:219]
	v_fma_f64 v[167:168], v[216:217], s[18:19], -v[167:168]
	s_waitcnt lgkmcnt(0)
	v_add_f64 v[216:217], v[76:77], v[90:91]
	v_mul_f64 v[76:77], v[84:85], s[16:17]
	v_fma_f64 v[84:85], v[86:87], s[0:1], -v[196:197]
	v_fma_f64 v[86:87], v[2:3], s[20:21], v[196:197]
	v_fma_f64 v[2:3], v[2:3], s[22:23], -v[160:161]
	v_mul_f64 v[160:161], v[80:81], s[0:1]
	v_fma_f64 v[90:91], v[90:91], s[10:11], v[216:217]
	v_fma_f64 v[80:81], v[80:81], s[0:1], -v[76:77]
	v_fma_f64 v[76:77], v[82:83], s[20:21], v[76:77]
	v_fma_f64 v[84:85], v[68:69], s[14:15], v[84:85]
	;; [unrolled: 1-line block ×4, first 2 shown]
	v_fma_f64 v[82:83], v[82:83], s[22:23], -v[160:161]
	v_fma_f64 v[80:81], v[64:65], s[14:15], v[80:81]
	v_fma_f64 v[76:77], v[64:65], s[14:15], v[76:77]
	;; [unrolled: 1-line block ×3, first 2 shown]
	s_waitcnt vmcnt(2)
	v_add_f64 v[88:89], v[192:193], v[208:209]
	v_fma_f64 v[196:197], v[208:209], s[10:11], v[88:89]
	v_add_f64 v[208:209], v[214:215], v[90:91]
	v_add_f64 v[160:161], v[162:163], v[196:197]
	;; [unrolled: 1-line block ×9, first 2 shown]
	v_add_f64 v[40:41], v[40:41], -v[128:129]
	v_add_f64 v[128:129], v[42:43], v[94:95]
	v_add_f64 v[42:43], v[42:43], -v[94:95]
	v_add_f64 v[94:95], v[38:39], -v[74:75]
	v_add_f64 v[38:39], v[74:75], v[38:39]
	v_add_f64 v[74:75], v[36:37], -v[72:73]
	v_add_f64 v[36:37], v[72:73], v[36:37]
	;; [unrolled: 2-line block ×3, first 2 shown]
	v_add_f64 v[46:47], v[52:53], -v[46:47]
	v_add_f64 v[234:235], v[162:163], -v[86:87]
	v_add_f64 v[72:73], v[170:171], -v[80:81]
	v_add_f64 v[60:61], v[80:81], v[170:171]
	v_add_f64 v[170:171], v[208:209], -v[84:85]
	v_add_f64 v[68:69], v[196:197], v[167:168]
	v_add_f64 v[52:53], v[196:197], -v[167:168]
	v_add_f64 v[82:83], v[128:129], v[210:211]
	v_add_f64 v[80:81], v[94:95], v[40:41]
	v_add_f64 v[167:168], v[167:168], -v[38:39]
	v_add_f64 v[84:85], v[74:75], v[42:43]
	v_add_f64 v[196:197], v[38:39], -v[196:197]
	v_add_f64 v[208:209], v[210:211], -v[36:37]
	v_add_f64 v[38:39], v[38:39], v[68:69]
	v_add_f64 v[68:69], v[128:129], -v[210:211]
	;; [unrolled: 3-line block ×3, first 2 shown]
	v_add_f64 v[94:95], v[54:55], -v[94:95]
	v_add_f64 v[40:41], v[40:41], -v[54:55]
	v_add_f64 v[54:55], v[80:81], v[54:55]
	v_add_f64 v[80:81], v[74:75], -v[42:43]
	v_add_f64 v[74:75], v[46:47], -v[74:75]
	;; [unrolled: 1-line block ×3, first 2 shown]
	v_add_f64 v[46:47], v[84:85], v[46:47]
	v_mul_f64 v[84:85], v[167:168], s[4:5]
	v_mul_f64 v[167:168], v[196:197], s[12:13]
	s_waitcnt vmcnt(0)
	v_add_f64 v[210:211], v[194:195], v[38:39]
	v_add_f64 v[218:219], v[78:79], v[36:37]
	v_mul_f64 v[78:79], v[208:209], s[4:5]
	v_mul_f64 v[208:209], v[128:129], s[12:13]
	;; [unrolled: 1-line block ×5, first 2 shown]
	v_fma_f64 v[196:197], v[196:197], s[12:13], v[84:85]
	v_fma_f64 v[167:168], v[52:53], s[6:7], -v[167:168]
	v_fma_f64 v[52:53], v[52:53], s[18:19], -v[84:85]
	v_mul_f64 v[84:85], v[42:43], s[0:1]
	v_fma_f64 v[38:39], v[38:39], s[10:11], v[210:211]
	v_fma_f64 v[36:37], v[36:37], s[10:11], v[218:219]
	v_fma_f64 v[128:129], v[128:129], s[12:13], v[78:79]
	v_fma_f64 v[208:209], v[68:69], s[6:7], -v[208:209]
	v_fma_f64 v[68:69], v[68:69], s[18:19], -v[78:79]
	v_fma_f64 v[78:79], v[94:95], s[20:21], v[82:83]
	v_fma_f64 v[40:41], v[40:41], s[0:1], -v[82:83]
	v_fma_f64 v[82:83], v[74:75], s[20:21], v[80:81]
	v_fma_f64 v[42:43], v[42:43], s[0:1], -v[80:81]
	v_fma_f64 v[80:81], v[94:95], s[22:23], -v[226:227]
	v_add_f64 v[94:95], v[28:29], v[50:51]
	v_add_f64 v[226:227], v[34:35], v[22:23]
	v_add_f64 v[22:23], v[34:35], -v[22:23]
	v_fma_f64 v[74:75], v[74:75], s[22:23], -v[84:85]
	v_add_f64 v[84:85], v[30:31], v[66:67]
	v_add_f64 v[34:35], v[26:27], v[16:17]
	v_add_f64 v[16:17], v[16:17], -v[26:27]
	v_add_f64 v[26:27], v[32:33], v[44:45]
	v_add_f64 v[30:31], v[30:31], -v[66:67]
	v_add_f64 v[66:67], v[24:25], v[18:19]
	v_add_f64 v[196:197], v[196:197], v[38:39]
	;; [unrolled: 1-line block ×4, first 2 shown]
	v_add_f64 v[32:33], v[32:33], -v[44:45]
	v_add_f64 v[28:29], v[28:29], -v[50:51]
	;; [unrolled: 1-line block ×3, first 2 shown]
	v_fma_f64 v[78:79], v[54:55], s[14:15], v[78:79]
	v_fma_f64 v[40:41], v[54:55], s[14:15], v[40:41]
	;; [unrolled: 1-line block ×5, first 2 shown]
	v_add_f64 v[52:53], v[226:227], v[84:85]
	v_add_f64 v[50:51], v[226:227], -v[84:85]
	v_add_f64 v[84:85], v[84:85], -v[34:35]
	v_add_f64 v[44:45], v[26:27], v[94:95]
	v_add_f64 v[226:227], v[34:35], -v[226:227]
	v_add_f64 v[24:25], v[16:17], v[22:23]
	v_fma_f64 v[74:75], v[54:55], s[14:15], v[80:81]
	v_add_f64 v[230:231], v[18:19], -v[32:33]
	v_add_f64 v[34:35], v[34:35], v[52:53]
	v_add_f64 v[52:53], v[26:27], -v[94:95]
	v_add_f64 v[94:95], v[94:95], -v[66:67]
	v_add_f64 v[26:27], v[66:67], -v[26:27]
	v_add_f64 v[44:45], v[66:67], v[44:45]
	v_add_f64 v[66:67], v[16:17], -v[22:23]
	v_add_f64 v[22:23], v[22:23], -v[30:31]
	;; [unrolled: 1-line block ×3, first 2 shown]
	v_add_f64 v[24:25], v[24:25], v[30:31]
	v_add_f64 v[30:31], v[18:19], v[32:33]
	v_add_f64 v[18:19], v[28:29], -v[18:19]
	v_add_f64 v[32:33], v[32:33], -v[28:29]
	v_mul_f64 v[84:85], v[84:85], s[4:5]
	v_mul_f64 v[230:231], v[230:231], s[16:17]
	v_add_f64 v[232:233], v[20:21], v[44:45]
	v_mul_f64 v[20:21], v[94:95], s[4:5]
	v_mul_f64 v[94:95], v[26:27], s[12:13]
	;; [unrolled: 1-line block ×3, first 2 shown]
	v_add_f64 v[28:29], v[30:31], v[28:29]
	v_add_f64 v[30:31], v[184:185], v[34:35]
	v_mul_f64 v[184:185], v[226:227], s[12:13]
	v_fma_f64 v[226:227], v[226:227], s[12:13], v[84:85]
	v_fma_f64 v[44:45], v[44:45], s[10:11], v[232:233]
	v_fma_f64 v[26:27], v[26:27], s[12:13], v[20:21]
	v_fma_f64 v[94:95], v[52:53], s[6:7], -v[94:95]
	v_fma_f64 v[20:21], v[52:53], s[18:19], -v[20:21]
	v_mul_f64 v[52:53], v[22:23], s[0:1]
	v_fma_f64 v[22:23], v[22:23], s[0:1], -v[66:67]
	v_fma_f64 v[66:67], v[16:17], s[20:21], v[66:67]
	v_fma_f64 v[184:185], v[50:51], s[6:7], -v[184:185]
	v_fma_f64 v[50:51], v[50:51], s[18:19], -v[84:85]
	v_fma_f64 v[34:35], v[34:35], s[10:11], v[30:31]
	v_mul_f64 v[84:85], v[32:33], s[0:1]
	v_fma_f64 v[32:33], v[32:33], s[0:1], -v[230:231]
	v_fma_f64 v[230:231], v[18:19], s[20:21], v[230:231]
	v_add_f64 v[26:27], v[26:27], v[44:45]
	v_add_f64 v[94:95], v[94:95], v[44:45]
	;; [unrolled: 1-line block ×3, first 2 shown]
	v_fma_f64 v[16:17], v[16:17], s[22:23], -v[52:53]
	v_fma_f64 v[22:23], v[24:25], s[14:15], v[22:23]
	v_add_f64 v[52:53], v[128:129], v[36:37]
	v_add_f64 v[128:129], v[208:209], v[36:37]
	;; [unrolled: 1-line block ×6, first 2 shown]
	v_fma_f64 v[50:51], v[24:25], s[14:15], v[66:67]
	v_add_f64 v[66:67], v[167:168], -v[42:43]
	v_add_f64 v[42:43], v[42:43], v[167:168]
	v_fma_f64 v[18:19], v[18:19], s[22:23], -v[84:85]
	v_fma_f64 v[44:45], v[28:29], s[14:15], v[230:231]
	v_add_f64 v[68:69], v[64:65], v[134:135]
	v_add_f64 v[84:85], v[76:77], v[160:161]
	v_add_f64 v[208:209], v[90:91], -v[2:3]
	v_fma_f64 v[16:17], v[24:25], s[14:15], v[16:17]
	v_add_f64 v[238:239], v[22:23], v[94:95]
	v_add_f64 v[240:241], v[94:95], -v[22:23]
	buffer_load_dword v22, off, s[28:31], 0 offset:36 ; 4-byte Folded Reload
	v_add_f64 v[184:185], v[36:37], -v[74:75]
	v_add_f64 v[167:168], v[74:75], v[36:37]
	v_mov_b32_e32 v75, 3
	s_waitcnt vmcnt(0)
	s_waitcnt_vscnt null, 0x0
	v_mov_b32_e32 v74, 0x188
	v_add_f64 v[24:25], v[134:135], -v[64:65]
	v_add_f64 v[64:65], v[46:47], v[38:39]
	v_lshlrev_b32_sdwa v23, v75, v189 dst_sel:DWORD dst_unused:UNUSED_PAD src0_sel:DWORD src1_sel:BYTE_0
	v_fma_f64 v[18:19], v[28:29], s[14:15], v[18:19]
	v_fma_f64 v[28:29], v[28:29], s[14:15], v[32:33]
	v_add_f64 v[32:33], v[82:83], v[196:197]
	v_add_f64 v[134:135], v[2:3], v[90:91]
	v_add_f64 v[2:3], v[160:161], -v[76:77]
	v_add_f64 v[38:39], v[38:39], -v[46:47]
	;; [unrolled: 1-line block ×3, first 2 shown]
	v_add_f64 v[226:227], v[40:41], v[128:129]
	v_add_f64 v[128:129], v[128:129], -v[40:41]
	v_add_f64 v[40:41], v[44:45], v[54:55]
	v_add_f64 v[236:237], v[20:21], -v[16:17]
	v_add_f64 v[189:190], v[16:17], v[20:21]
	buffer_load_dword v20, off, s[28:31], 0 offset:20 ; 4-byte Folded Reload
	v_lshlrev_b32_sdwa v21, v75, v254 dst_sel:DWORD dst_unused:UNUSED_PAD src0_sel:DWORD src1_sel:BYTE_0
	s_barrier
	s_waitcnt vmcnt(0)
	buffer_gl0_inv
	v_add_f64 v[160:161], v[86:87], v[162:163]
	v_add_f64 v[162:163], v[52:53], -v[78:79]
	v_add_f64 v[196:197], v[78:79], v[52:53]
	v_add_f64 v[16:17], v[54:55], -v[44:45]
	v_add_f64 v[230:231], v[26:27], -v[50:51]
	v_add_f64 v[242:243], v[50:51], v[26:27]
	v_add_f64 v[46:47], v[18:19], v[34:35]
	v_add_f64 v[52:53], v[80:81], -v[28:29]
	v_add_f64 v[28:29], v[28:29], v[80:81]
	v_add_f64 v[18:19], v[34:35], -v[18:19]
	v_mul_u32_u24_sdwa v22, v22, v74 dst_sel:DWORD dst_unused:UNUSED_PAD src0_sel:WORD_0 src1_sel:DWORD
	v_add3_u32 v244, 0, v22, v23
	ds_write2_b64 v244, v[175:176], v[56:57] offset1:7
	ds_write2_b64 v244, v[62:63], v[58:59] offset0:14 offset1:21
	v_mul_u32_u24_sdwa v20, v20, v74 dst_sel:DWORD dst_unused:UNUSED_PAD src0_sel:WORD_0 src1_sel:DWORD
	v_add3_u32 v175, 0, v20, v21
	buffer_load_dword v20, off, s[28:31], 0 offset:68 ; 4-byte Folded Reload
	ds_write2_b64 v244, v[14:15], v[48:49] offset0:28 offset1:35
	ds_write_b64 v244, v[70:71] offset:336
	ds_write2_b64 v175, v[12:13], v[148:149] offset1:7
	ds_write2_b64 v175, v[98:99], v[130:131] offset0:14 offset1:21
	v_lshlrev_b32_sdwa v21, v75, v11 dst_sel:DWORD dst_unused:UNUSED_PAD src0_sel:DWORD src1_sel:BYTE_0
	buffer_load_dword v11, off, s[28:31], 0 offset:84 ; 4-byte Folded Reload
	v_lshlrev_b32_sdwa v13, v75, v188 dst_sel:DWORD dst_unused:UNUSED_PAD src0_sel:DWORD src1_sel:BYTE_0
	s_waitcnt vmcnt(1)
	v_mul_u32_u24_sdwa v20, v20, v74 dst_sel:DWORD dst_unused:UNUSED_PAD src0_sel:WORD_0 src1_sel:DWORD
	s_waitcnt vmcnt(0)
	v_mul_u32_u24_sdwa v12, v11, v74 dst_sel:DWORD dst_unused:UNUSED_PAD src0_sel:WORD_0 src1_sel:DWORD
	v_add3_u32 v130, 0, v20, v21
	ds_write2_b64 v175, v[92:93], v[136:137] offset0:28 offset1:35
	ds_write_b64 v175, v[140:141] offset:336
	ds_write2_b64 v130, v[8:9], v[220:221] offset1:7
	ds_write2_b64 v130, v[152:153], v[154:155] offset0:14 offset1:21
	buffer_load_dword v8, off, s[28:31], 0 offset:88 ; 4-byte Folded Reload
	v_add3_u32 v131, 0, v12, v13
	v_lshlrev_b32_sdwa v9, v75, v199 dst_sel:DWORD dst_unused:UNUSED_PAD src0_sel:DWORD src1_sel:BYTE_0
	ds_write2_b64 v130, v[156:157], v[158:159] offset0:28 offset1:35
	ds_write_b64 v130, v[4:5] offset:336
	ds_write2_b64 v131, v[245:246], v[212:213] offset1:7
	ds_write2_b64 v131, v[164:165], v[186:187] offset0:14 offset1:21
	v_mul_u32_u24_sdwa v4, v202, v74 dst_sel:DWORD dst_unused:UNUSED_PAD src0_sel:WORD_0 src1_sel:DWORD
	ds_write2_b64 v131, v[177:178], v[0:1] offset0:28 offset1:35
	v_mul_u32_u24_sdwa v0, v200, v74 dst_sel:DWORD dst_unused:UNUSED_PAD src0_sel:WORD_0 src1_sel:DWORD
	v_lshlrev_b32_sdwa v1, v75, v201 dst_sel:DWORD dst_unused:UNUSED_PAD src0_sel:DWORD src1_sel:WORD_0
	v_lshlrev_b32_sdwa v5, v75, v203 dst_sel:DWORD dst_unused:UNUSED_PAD src0_sel:DWORD src1_sel:WORD_0
	v_add_nc_u32_e32 v158, 0x2000, v166
	v_mov_b32_e32 v164, v249
	v_add3_u32 v137, 0, v0, v1
	v_add_nc_u32_e32 v0, 0x1c00, v166
	v_add_nc_u32_e32 v1, 0x3400, v166
	v_add3_u32 v140, 0, v4, v5
	s_waitcnt vmcnt(0)
	v_mul_u32_u24_sdwa v8, v8, v74 dst_sel:DWORD dst_unused:UNUSED_PAD src0_sel:WORD_0 src1_sel:DWORD
	v_add3_u32 v136, 0, v8, v9
	v_add_nc_u32_e32 v8, 0x2800, v166
	ds_write_b64 v131, v[6:7] offset:336
	ds_write2_b64 v136, v[88:89], v[84:85] offset1:7
	ds_write2_b64 v136, v[68:69], v[72:73] offset0:14 offset1:21
	ds_write2_b64 v136, v[60:61], v[24:25] offset0:28 offset1:35
	ds_write_b64 v136, v[2:3] offset:336
	ds_write2_b64 v137, v[210:211], v[32:33] offset1:7
	ds_write2_b64 v137, v[64:65], v[66:67] offset0:14 offset1:21
	ds_write2_b64 v137, v[42:43], v[38:39] offset0:28 offset1:35
	;; [unrolled: 4-line block ×3, first 2 shown]
	ds_write_b64 v140, v[16:17] offset:336
	s_waitcnt lgkmcnt(0)
	s_barrier
	buffer_gl0_inv
	ds_read2_b64 v[12:15], v166 offset1:49
	ds_read2_b64 v[4:7], v198 offset0:38 offset1:87
	ds_read2_b64 v[92:95], v255 offset0:174 offset1:223
	;; [unrolled: 1-line block ×10, first 2 shown]
	v_add_nc_u32_e32 v9, 0x1800, v166
	v_add_nc_u32_e32 v3, 0xc00, v166
	s_waitcnt lgkmcnt(0)
	buffer_store_dword v16, off, s[28:31], 0 offset:52 ; 4-byte Folded Spill
	buffer_store_dword v17, off, s[28:31], 0 offset:56 ; 4-byte Folded Spill
	;; [unrolled: 1-line block ×4, first 2 shown]
	ds_read2_b64 v[80:83], v9 offset0:16 offset1:65
	ds_read2_b64 v[76:79], v8 offset0:190 offset1:239
	;; [unrolled: 1-line block ×7, first 2 shown]
	v_and_b32_e32 v2, 0xff, v182
	s_waitcnt lgkmcnt(0)
	buffer_store_dword v16, off, s[28:31], 0 offset:36 ; 4-byte Folded Spill
	buffer_store_dword v17, off, s[28:31], 0 offset:40 ; 4-byte Folded Spill
	;; [unrolled: 1-line block ×4, first 2 shown]
	ds_read2_b64 v[56:59], v9 offset0:114 offset1:163
	ds_read2_b64 v[20:23], v248 offset0:32 offset1:81
	;; [unrolled: 1-line block ×6, first 2 shown]
	ds_read_b64 v[98:99], v166 offset:18816
	s_waitcnt lgkmcnt(0)
	s_waitcnt_vscnt null, 0x0
	s_barrier
	buffer_gl0_inv
	ds_write2_b64 v244, v[96:97], v[112:113] offset1:7
	ds_write2_b64 v244, v[106:107], v[102:103] offset0:14 offset1:21
	ds_write2_b64 v244, v[104:105], v[108:109] offset0:28 offset1:35
	ds_write_b64 v244, v[110:111] offset:336
	ds_write2_b64 v175, v[100:101], v[124:125] offset1:7
	ds_write2_b64 v175, v[118:119], v[114:115] offset0:14 offset1:21
	ds_write2_b64 v175, v[116:117], v[120:121] offset0:28 offset1:35
	ds_write_b64 v175, v[122:123] offset:336
	;; [unrolled: 4-line block ×6, first 2 shown]
	ds_write2_b64 v140, v[232:233], v[230:231] offset1:7
	v_mul_u32_u24_e32 v96, 6, v10
	v_mul_lo_u16 v97, 0x4f, v2
	v_and_b32_e32 v2, 0xff, v183
	v_mov_b32_e32 v159, v8
	v_mov_b32_e32 v194, v9
	v_lshlrev_b32_e32 v162, 4, v96
	v_lshrrev_b16 v96, 8, v97
	v_mul_lo_u16 v108, 0x4f, v2
	v_mov_b32_e32 v9, v247
	v_mov_b32_e32 v8, v10
	buffer_store_dword v8, off, s[28:31], 0 offset:8 ; 4-byte Folded Spill
	buffer_store_dword v9, off, s[28:31], 0 offset:12 ; 4-byte Folded Spill
	v_sub_nc_u16 v97, v182, v96
	ds_write2_b64 v140, v[236:237], v[238:239] offset0:14 offset1:21
	ds_write2_b64 v140, v[240:241], v[189:190] offset0:28 offset1:35
	ds_write_b64 v140, v[242:243] offset:336
	s_waitcnt lgkmcnt(0)
	s_waitcnt_vscnt null, 0x0
	s_barrier
	v_lshrrev_b16 v97, 1, v97
	buffer_gl0_inv
	s_clause 0x1
	global_load_dwordx4 v[100:103], v162, s[8:9] offset:688
	global_load_dwordx4 v[104:107], v162, s[8:9] offset:720
	v_mov_b32_e32 v132, 0x4e5f
	v_and_b32_e32 v97, 0x7f, v97
	v_mov_b32_e32 v160, v158
	v_mov_b32_e32 v8, v159
	v_add_nc_u16 v96, v97, v96
	v_lshrrev_b16 v97, 8, v108
	global_load_dwordx4 v[108:111], v162, s[8:9] offset:752
	v_lshrrev_b16 v96, 5, v96
	v_sub_nc_u16 v112, v183, v97
	v_mul_lo_u16 v96, v96, 49
	v_lshrrev_b16 v112, 1, v112
	v_sub_nc_u16 v96, v182, v96
	v_and_b32_e32 v112, 0x7f, v112
	v_and_b32_e32 v161, 0xff, v96
	v_add_nc_u16 v96, v112, v97
	v_mul_u32_u24_e32 v97, 6, v161
	v_lshrrev_b16 v96, 5, v96
	v_lshlrev_b32_e32 v249, 4, v97
	v_mul_lo_u16 v96, v96, 49
	s_clause 0x1
	global_load_dwordx4 v[112:115], v249, s[8:9] offset:688
	global_load_dwordx4 v[120:123], v249, s[8:9] offset:720
	v_sub_nc_u16 v96, v183, v96
	global_load_dwordx4 v[136:139], v249, s[8:9] offset:752
	v_and_b32_e32 v2, 0xff, v96
	buffer_store_dword v2, off, s[28:31], 0 offset:20 ; 4-byte Folded Spill
	v_mul_u32_u24_e32 v96, 6, v2
	buffer_load_dword v2, off, s[28:31], 0 offset:16 ; 4-byte Folded Reload
	buffer_store_dword v191, off, s[28:31], 0 offset:16 ; 4-byte Folded Spill
	v_lshlrev_b32_e32 v96, 4, v96
	s_clause 0x2
	global_load_dwordx4 v[116:119], v96, s[8:9] offset:688
	global_load_dwordx4 v[124:127], v96, s[8:9] offset:720
	;; [unrolled: 1-line block ×3, first 2 shown]
	s_waitcnt vmcnt(9)
	v_mul_f64 v[144:145], v[92:93], v[102:103]
	s_waitcnt vmcnt(8)
	v_mul_f64 v[170:171], v[88:89], v[106:107]
	s_waitcnt vmcnt(3)
	v_mul_lo_u16 v97, 0x4f, v2
	v_mov_b32_e32 v2, v194
	v_lshrrev_b16 v97, 8, v97
	v_sub_nc_u16 v128, v191, v97
	v_lshrrev_b16 v128, 1, v128
	v_and_b32_e32 v128, 0x7f, v128
	v_add_nc_u16 v97, v128, v97
	v_mul_u32_u24_sdwa v128, v172, v132 dst_sel:DWORD dst_unused:UNUSED_PAD src0_sel:WORD_0 src1_sel:DWORD
	v_lshrrev_b16 v97, 5, v97
	v_lshrrev_b32_e32 v128, 16, v128
	v_mul_lo_u16 v97, v97, 49
	v_sub_nc_u16 v129, v172, v128
	v_sub_nc_u16 v97, v191, v97
	v_lshrrev_b16 v129, 1, v129
	v_and_b32_e32 v163, 0xff, v97
	v_mul_u32_u24_e32 v97, 6, v163
	v_lshlrev_b32_e32 v97, 4, v97
	s_clause 0x5
	global_load_dwordx4 v[146:149], v96, s[8:9] offset:672
	global_load_dwordx4 v[150:153], v97, s[8:9] offset:672
	;; [unrolled: 1-line block ×6, first 2 shown]
	v_add_nc_u16 v96, v129, v128
	global_load_dwordx4 v[190:193], v97, s[8:9] offset:736
	buffer_store_dword v172, off, s[28:31], 0 offset:84 ; 4-byte Folded Spill
	v_lshrrev_b16 v96, 5, v96
	v_mul_lo_u16 v96, v96, 49
	v_sub_nc_u16 v96, v172, v96
	v_and_b32_e32 v172, 0xffff, v96
	v_mul_u32_u24_e32 v96, 6, v172
	v_lshlrev_b32_e32 v253, 4, v96
	s_clause 0x4
	global_load_dwordx4 v[203:206], v253, s[8:9] offset:688
	global_load_dwordx4 v[207:210], v97, s[8:9] offset:720
	;; [unrolled: 1-line block ×5, first 2 shown]
	ds_read2_b64 v[128:131], v255 offset0:174 offset1:223
	v_mul_u32_u24_sdwa v96, v179, v132 dst_sel:DWORD dst_unused:UNUSED_PAD src0_sel:WORD_0 src1_sel:DWORD
	ds_read2_b64 v[132:135], v159 offset0:92 offset1:141
	ds_read2_b64 v[231:234], v169 offset0:10 offset1:59
	s_clause 0x1
	global_load_dwordx4 v[227:230], v249, s[8:9] offset:672
	global_load_dwordx4 v[239:242], v162, s[8:9] offset:736
	v_lshrrev_b32_e32 v165, 16, v96
	s_clause 0x1
	global_load_dwordx4 v[223:226], v162, s[8:9] offset:672
	global_load_dwordx4 v[235:238], v162, s[8:9] offset:704
	v_sub_nc_u16 v167, v179, v165
	v_lshrrev_b16 v167, 1, v167
	s_waitcnt lgkmcnt(2)
	v_mul_f64 v[96:97], v[128:129], v[102:103]
	v_mul_f64 v[158:159], v[130:131], v[102:103]
	v_add_nc_u16 v165, v167, v165
	s_waitcnt lgkmcnt(1)
	v_mul_f64 v[167:168], v[132:133], v[106:107]
	v_mul_f64 v[173:174], v[134:135], v[106:107]
	;; [unrolled: 1-line block ×4, first 2 shown]
	v_lshrrev_b16 v165, 5, v165
	v_fma_f64 v[177:178], v[128:129], v[100:101], -v[144:145]
	s_waitcnt lgkmcnt(0)
	v_mul_f64 v[128:129], v[233:234], v[110:111]
	v_fma_f64 v[170:171], v[132:133], v[104:105], -v[170:171]
	v_mul_f64 v[132:133], v[84:85], v[110:111]
	v_mul_lo_u16 v165, v165, 49
	v_fma_f64 v[175:176], v[92:93], v[100:101], v[96:97]
	v_sub_nc_u16 v92, v179, v165
	v_fma_f64 v[180:181], v[94:95], v[100:101], v[158:159]
	v_mul_f64 v[96:97], v[231:232], v[110:111]
	v_fma_f64 v[167:168], v[88:89], v[104:105], v[167:168]
	v_fma_f64 v[173:174], v[90:91], v[104:105], v[173:174]
	v_and_b32_e32 v165, 0xffff, v92
	ds_read2_b64 v[92:95], v194 offset0:16 offset1:65
	v_fma_f64 v[194:195], v[134:135], v[104:105], -v[106:107]
	v_mul_f64 v[104:105], v[86:87], v[110:111]
	v_mul_f64 v[110:111], v[80:81], v[114:115]
	v_fma_f64 v[243:244], v[86:87], v[108:109], v[128:129]
	v_fma_f64 v[231:232], v[231:232], v[108:109], -v[132:133]
	v_mov_b32_e32 v179, v248
	v_fma_f64 v[130:131], v[130:131], v[100:101], -v[102:103]
	v_mul_u32_u24_e32 v100, 6, v165
	global_load_dwordx4 v[88:91], v253, s[8:9] offset:672
	v_lshlrev_b32_e32 v254, 4, v100
	v_fma_f64 v[196:197], v[84:85], v[108:109], v[96:97]
	global_load_dwordx4 v[84:87], v249, s[8:9] offset:704
	s_waitcnt lgkmcnt(0)
	v_mul_f64 v[96:97], v[92:93], v[114:115]
	global_load_dwordx4 v[100:103], v254, s[8:9] offset:672
	v_fma_f64 v[233:234], v[233:234], v[108:109], -v[104:105]
	s_waitcnt vmcnt(21)
	v_mul_f64 v[108:109], v[94:95], v[118:119]
	ds_read2_b64 v[104:107], v8 offset0:190 offset1:239
	v_fma_f64 v[247:248], v[92:93], v[112:113], -v[110:111]
	v_mul_f64 v[92:93], v[82:83], v[118:119]
	v_fma_f64 v[245:246], v[80:81], v[112:113], v[96:97]
	s_waitcnt vmcnt(20)
	v_mul_f64 v[112:113], v[78:79], v[126:127]
	s_waitcnt lgkmcnt(0)
	v_mul_f64 v[96:97], v[104:105], v[122:123]
	v_fma_f64 v[132:133], v[82:83], v[116:117], v[108:109]
	v_mul_f64 v[108:109], v[76:77], v[122:123]
	v_mul_f64 v[110:111], v[106:107], v[126:127]
	v_fma_f64 v[128:129], v[94:95], v[116:117], -v[92:93]
	ds_read2_b64 v[92:95], v169 offset0:108 offset1:157
	global_load_dwordx4 v[80:83], v249, s[8:9] offset:736
	v_fma_f64 v[126:127], v[76:77], v[120:121], v[96:97]
	v_fma_f64 v[120:121], v[104:105], v[120:121], -v[108:109]
	s_waitcnt lgkmcnt(0)
	v_mul_f64 v[96:97], v[92:93], v[138:139]
	v_mul_f64 v[108:109], v[72:73], v[138:139]
	v_fma_f64 v[134:135], v[78:79], v[124:125], v[110:111]
	s_waitcnt vmcnt(20)
	v_mul_f64 v[114:115], v[94:95], v[142:143]
	ds_read2_b64 v[76:79], v3 offset0:106 offset1:155
	v_fma_f64 v[138:139], v[106:107], v[124:125], -v[112:113]
	v_mul_f64 v[112:113], v[74:75], v[142:143]
	global_load_dwordx4 v[104:107], v253, s[8:9] offset:704
	v_fma_f64 v[249:250], v[72:73], v[136:137], v[96:97]
	v_fma_f64 v[251:252], v[92:93], v[136:137], -v[108:109]
	global_load_dwordx4 v[108:111], v254, s[8:9] offset:688
	v_fma_f64 v[136:137], v[74:75], v[140:141], v[114:115]
	ds_read2_b64 v[72:75], v160 offset0:152 offset1:201
	v_fma_f64 v[140:141], v[94:95], v[140:141], -v[112:113]
	global_load_dwordx4 v[112:115], v254, s[8:9] offset:704
	s_waitcnt vmcnt(22) lgkmcnt(1)
	v_mul_f64 v[92:93], v[76:77], v[148:149]
	v_mul_f64 v[96:97], v[68:69], v[148:149]
	s_waitcnt vmcnt(21)
	v_mul_f64 v[94:95], v[78:79], v[152:153]
	v_mul_f64 v[116:117], v[70:71], v[152:153]
	s_waitcnt vmcnt(18)
	v_mul_f64 v[122:123], v[60:61], v[188:189]
	v_fma_f64 v[144:145], v[68:69], v[146:147], v[92:93]
	v_fma_f64 v[142:143], v[76:77], v[146:147], -v[96:97]
	s_waitcnt lgkmcnt(0)
	v_mul_f64 v[76:77], v[72:73], v[156:157]
	v_mul_f64 v[92:93], v[64:65], v[156:157]
	global_load_dwordx4 v[156:159], v254, s[8:9] offset:720
	v_fma_f64 v[68:69], v[70:71], v[150:151], v[94:95]
	v_fma_f64 v[70:71], v[78:79], v[150:151], -v[116:117]
	v_mul_f64 v[94:95], v[74:75], v[184:185]
	global_load_dwordx4 v[116:119], v253, s[8:9] offset:736
	s_waitcnt vmcnt(17)
	v_mul_f64 v[124:125], v[58:59], v[205:206]
	s_waitcnt vmcnt(16)
	v_mul_f64 v[152:153], v[20:21], v[209:210]
	v_fma_f64 v[146:147], v[64:65], v[154:155], v[76:77]
	v_fma_f64 v[148:149], v[72:73], v[154:155], -v[92:93]
	ds_read2_b64 v[76:79], v164 offset0:70 offset1:119
	v_mul_f64 v[72:73], v[66:67], v[184:185]
	v_fma_f64 v[64:65], v[66:67], v[182:183], v[94:95]
	ds_read2_b64 v[92:95], v2 offset0:114 offset1:163
	s_waitcnt lgkmcnt(1)
	v_mul_f64 v[96:97], v[76:77], v[188:189]
	v_fma_f64 v[150:151], v[76:77], v[186:187], -v[122:123]
	v_fma_f64 v[66:67], v[74:75], v[182:183], -v[72:73]
	v_mul_f64 v[72:73], v[78:79], v[192:193]
	v_mul_f64 v[74:75], v[62:63], v[192:193]
	s_waitcnt lgkmcnt(0)
	v_mul_f64 v[76:77], v[92:93], v[201:202]
	v_mul_f64 v[122:123], v[94:95], v[205:206]
	s_waitcnt vmcnt(15)
	v_mul_f64 v[192:193], v[22:23], v[213:214]
	global_load_dwordx4 v[182:185], v254, s[8:9] offset:736
	s_waitcnt vmcnt(13)
	v_mul_f64 v[205:206], v[50:51], v[229:230]
	v_fma_f64 v[154:155], v[60:61], v[186:187], v[96:97]
	global_load_dwordx4 v[186:189], v254, s[8:9] offset:752
	v_mul_f64 v[96:97], v[56:57], v[201:202]
	v_mov_b32_e32 v254, v0
	v_fma_f64 v[72:73], v[62:63], v[190:191], v[72:73]
	ds_read2_b64 v[60:63], v179 offset0:32 offset1:81
	v_fma_f64 v[74:75], v[78:79], v[190:191], -v[74:75]
	v_fma_f64 v[76:77], v[56:57], v[199:200], v[76:77]
	v_fma_f64 v[56:57], v[58:59], v[203:204], v[122:123]
	v_fma_f64 v[58:59], v[94:95], v[203:204], -v[124:125]
	v_fma_f64 v[78:79], v[92:93], v[199:200], -v[96:97]
	s_waitcnt lgkmcnt(0)
	v_mul_f64 v[92:93], v[60:61], v[209:210]
	v_mul_f64 v[190:191], v[62:63], v[213:214]
	ds_read2_b64 v[94:97], v169 offset0:206 offset1:255
	v_fma_f64 v[122:123], v[60:61], v[207:208], -v[152:153]
	v_mul_f64 v[199:200], v[54:55], v[221:222]
	v_fma_f64 v[62:63], v[62:63], v[211:212], -v[192:193]
	v_fma_f64 v[124:125], v[20:21], v[207:208], v[92:93]
	s_waitcnt lgkmcnt(0)
	v_mul_f64 v[20:21], v[94:95], v[217:218]
	v_fma_f64 v[60:61], v[22:23], v[211:212], v[190:191]
	v_mul_f64 v[22:23], v[52:53], v[217:218]
	v_mul_f64 v[152:153], v[96:97], v[221:222]
	ds_read2_b64 v[190:193], v198 offset0:136 offset1:185
	v_fma_f64 v[92:93], v[52:53], v[215:216], v[20:21]
	v_fma_f64 v[94:95], v[94:95], v[215:216], -v[22:23]
	ds_read2_b64 v[20:23], v198 offset0:38 offset1:87
	v_fma_f64 v[52:53], v[54:55], v[219:220], v[152:153]
	v_fma_f64 v[54:55], v[96:97], v[219:220], -v[199:200]
	ds_read2_b64 v[199:202], v255 offset0:76 offset1:125
	buffer_store_dword v4, off, s[28:31], 0 offset:68 ; 4-byte Folded Spill
	buffer_store_dword v5, off, s[28:31], 0 offset:72 ; 4-byte Folded Spill
	;; [unrolled: 1-line block ×4, first 2 shown]
	s_waitcnt vmcnt(12) lgkmcnt(2)
	v_mul_f64 v[203:204], v[190:191], v[225:226]
	v_mul_f64 v[96:97], v[48:49], v[225:226]
	v_mul_f64 v[152:153], v[192:193], v[229:230]
	v_fma_f64 v[205:206], v[192:193], v[227:228], -v[205:206]
	s_waitcnt lgkmcnt(1)
	v_mul_f64 v[207:208], v[22:23], v[225:226]
	v_fma_f64 v[203:204], v[48:49], v[223:224], v[203:204]
	v_fma_f64 v[209:210], v[190:191], v[223:224], -v[96:97]
	s_waitcnt vmcnt(8) lgkmcnt(0)
	v_mul_f64 v[96:97], v[201:202], v[102:103]
	v_fma_f64 v[152:153], v[50:51], v[227:228], v[152:153]
	v_mul_f64 v[50:51], v[199:200], v[90:91]
	v_mul_f64 v[90:91], v[44:45], v[90:91]
	ds_read2_b64 v[190:193], v160 offset0:54 offset1:103
	v_mul_f64 v[102:103], v[46:47], v[102:103]
	v_mul_f64 v[48:49], v[6:7], v[225:226]
	v_fma_f64 v[2:3], v[6:7], v[223:224], v[207:208]
	v_fma_f64 v[207:208], v[22:23], v[223:224], -v[48:49]
	v_fma_f64 v[22:23], v[46:47], v[100:101], v[96:97]
	s_waitcnt lgkmcnt(0)
	v_mul_f64 v[46:47], v[192:193], v[86:87]
	v_mul_f64 v[86:87], v[42:43], v[86:87]
	;; [unrolled: 1-line block ×3, first 2 shown]
	v_fma_f64 v[48:49], v[44:45], v[88:89], v[50:51]
	v_fma_f64 v[50:51], v[199:200], v[88:89], -v[90:91]
	v_mul_f64 v[199:200], v[190:191], v[237:238]
	v_fma_f64 v[44:45], v[201:202], v[100:101], -v[102:103]
	ds_read2_b64 v[100:103], v1 offset0:100 offset1:149
	ds_read2_b64 v[88:91], v0 offset0:84 offset1:133
	v_fma_f64 v[211:212], v[42:43], v[84:85], v[46:47]
	v_mul_f64 v[46:47], v[34:35], v[237:238]
	v_fma_f64 v[192:193], v[192:193], v[84:85], -v[86:87]
	v_fma_f64 v[86:87], v[190:191], v[235:236], -v[96:97]
	s_waitcnt vmcnt(7) lgkmcnt(1)
	v_mul_f64 v[96:97], v[102:103], v[82:83]
	s_waitcnt lgkmcnt(0)
	v_mul_f64 v[201:202], v[90:91], v[237:238]
	v_fma_f64 v[199:200], v[40:41], v[235:236], v[199:200]
	ds_read2_b64 v[40:43], v179 offset0:130 offset1:179
	v_mul_f64 v[84:85], v[100:101], v[241:242]
	v_mul_f64 v[82:83], v[38:39], v[82:83]
	v_add_f64 v[237:238], v[128:129], v[150:151]
	v_add_f64 v[223:224], v[211:212], v[126:127]
	v_fma_f64 v[90:91], v[90:91], v[235:236], -v[46:47]
	v_add_f64 v[225:226], v[192:193], v[120:121]
	v_fma_f64 v[213:214], v[38:39], v[80:81], v[96:97]
	s_waitcnt lgkmcnt(0)
	v_mul_f64 v[46:47], v[42:43], v[241:242]
	v_mul_f64 v[38:39], v[26:27], v[241:242]
	v_fma_f64 v[190:191], v[34:35], v[235:236], v[201:202]
	v_fma_f64 v[201:202], v[36:37], v[239:240], v[84:85]
	v_mul_f64 v[84:85], v[36:37], v[241:242]
	ds_read2_b64 v[34:37], v9 offset0:122 offset1:171
	v_fma_f64 v[215:216], v[102:103], v[80:81], -v[82:83]
	s_waitcnt vmcnt(5)
	v_mul_f64 v[102:103], v[32:33], v[110:111]
	ds_read2_b64 v[80:83], v164 offset0:168 offset1:217
	v_add_f64 v[235:236], v[132:133], v[154:155]
	v_fma_f64 v[96:97], v[26:27], v[239:240], v[46:47]
	v_mul_f64 v[46:47], v[28:29], v[106:107]
	v_fma_f64 v[38:39], v[42:43], v[239:240], -v[38:39]
	s_waitcnt lgkmcnt(1)
	v_mul_f64 v[26:27], v[34:35], v[106:107]
	v_fma_f64 v[100:101], v[100:101], v[239:240], -v[84:85]
	v_mul_f64 v[84:85], v[88:89], v[110:111]
	v_add_f64 v[110:111], v[190:191], v[167:168]
	v_add_f64 v[167:168], v[167:168], -v[190:191]
	s_waitcnt vmcnt(2) lgkmcnt(0)
	v_mul_f64 v[106:107], v[80:81], v[118:119]
	v_fma_f64 v[46:47], v[34:35], v[104:105], -v[46:47]
	v_add_f64 v[34:35], v[2:3], v[196:197]
	v_fma_f64 v[42:43], v[28:29], v[104:105], v[26:27]
	v_fma_f64 v[28:29], v[88:89], v[108:109], -v[102:103]
	v_add_f64 v[88:89], v[207:208], v[231:232]
	v_add_f64 v[102:103], v[175:176], v[96:97]
	;; [unrolled: 1-line block ×3, first 2 shown]
	v_fma_f64 v[26:27], v[32:33], v[108:109], v[84:85]
	v_mul_f64 v[32:33], v[36:37], v[114:115]
	v_mul_f64 v[84:85], v[30:31], v[114:115]
	v_add_f64 v[96:97], v[175:176], -v[96:97]
	v_add_f64 v[114:115], v[90:91], v[170:171]
	v_add_f64 v[2:3], v[2:3], -v[196:197]
	v_mul_f64 v[108:109], v[16:17], v[118:119]
	v_add_f64 v[38:39], v[177:178], -v[38:39]
	v_add_f64 v[118:119], v[170:171], -v[90:91]
	;; [unrolled: 1-line block ×4, first 2 shown]
	v_add_f64 v[170:171], v[102:103], v[34:35]
	v_add_f64 v[175:176], v[104:105], v[88:89]
	v_add_f64 v[190:191], v[110:111], -v[102:103]
	v_fma_f64 v[30:31], v[30:31], v[112:113], v[32:33]
	v_fma_f64 v[32:33], v[36:37], v[112:113], -v[84:85]
	v_add_f64 v[207:208], v[167:168], -v[96:97]
	v_add_f64 v[36:37], v[88:89], -v[114:115]
	;; [unrolled: 1-line block ×3, first 2 shown]
	v_fma_f64 v[84:85], v[16:17], v[116:117], v[106:107]
	v_add_f64 v[16:17], v[96:97], -v[2:3]
	v_fma_f64 v[90:91], v[80:81], v[116:117], -v[108:109]
	v_add_f64 v[34:35], v[102:103], -v[34:35]
	v_add_f64 v[80:81], v[167:168], v[96:97]
	v_add_f64 v[96:97], v[118:119], v[38:39]
	ds_read2_b64 v[106:109], v166 offset1:49
	v_add_f64 v[88:89], v[104:105], -v[88:89]
	v_add_f64 v[167:168], v[2:3], -v[167:168]
	v_mul_f64 v[116:117], v[177:178], s[4:5]
	v_add_f64 v[102:103], v[110:111], v[170:171]
	v_add_f64 v[110:111], v[114:115], v[175:176]
	v_add_f64 v[114:115], v[118:119], -v[38:39]
	v_mul_f64 v[170:171], v[190:191], s[12:13]
	v_add_f64 v[38:39], v[38:39], -v[196:197]
	v_add_f64 v[118:119], v[196:197], -v[118:119]
	v_mul_f64 v[36:37], v[36:37], s[4:5]
	v_mul_f64 v[104:105], v[112:113], s[12:13]
	;; [unrolled: 1-line block ×4, first 2 shown]
	v_add_f64 v[207:208], v[130:131], v[100:101]
	v_add_f64 v[130:131], v[130:131], -v[100:101]
	v_add_f64 v[80:81], v[80:81], v[2:3]
	v_add_f64 v[196:197], v[96:97], v[196:197]
	;; [unrolled: 1-line block ×3, first 2 shown]
	s_waitcnt lgkmcnt(0)
	v_add_f64 v[96:97], v[106:107], v[110:111]
	v_mul_f64 v[12:13], v[114:115], s[16:17]
	v_fma_f64 v[106:107], v[190:191], s[12:13], v[116:117]
	v_fma_f64 v[114:115], v[34:35], s[6:7], -v[170:171]
	v_fma_f64 v[34:35], v[34:35], s[18:19], -v[116:117]
	v_mul_f64 v[116:117], v[38:39], s[0:1]
	v_fma_f64 v[112:113], v[112:113], s[12:13], v[36:37]
	v_fma_f64 v[104:105], v[88:89], s[6:7], -v[104:105]
	v_fma_f64 v[36:37], v[88:89], s[18:19], -v[36:37]
	v_mul_f64 v[88:89], v[40:41], v[158:159]
	v_fma_f64 v[16:17], v[16:17], s[0:1], -v[175:176]
	v_fma_f64 v[170:171], v[167:168], s[20:21], v[175:176]
	v_mul_f64 v[158:159], v[24:25], v[158:159]
	v_fma_f64 v[167:168], v[167:168], s[22:23], -v[177:178]
	v_add_f64 v[177:178], v[180:181], v[201:202]
	v_add_f64 v[180:181], v[180:181], -v[201:202]
	v_add_f64 v[201:202], v[86:87], v[194:195]
	v_add_f64 v[194:195], v[194:195], -v[86:87]
	v_fma_f64 v[102:103], v[102:103], s[10:11], v[2:3]
	v_fma_f64 v[110:111], v[110:111], s[10:11], v[96:97]
	v_fma_f64 v[175:176], v[38:39], s[0:1], -v[12:13]
	v_fma_f64 v[12:13], v[118:119], s[20:21], v[12:13]
	v_fma_f64 v[116:117], v[118:119], s[22:23], -v[116:117]
	ds_read_b64 v[118:119], v166 offset:18816
	v_fma_f64 v[38:39], v[24:25], v[156:157], v[88:89]
	s_waitcnt vmcnt(1)
	v_mul_f64 v[24:25], v[82:83], v[184:185]
	v_mul_f64 v[88:89], v[18:19], v[184:185]
	v_fma_f64 v[40:41], v[40:41], v[156:157], -v[158:159]
	v_add_f64 v[156:157], v[203:204], v[243:244]
	v_add_f64 v[158:159], v[209:210], v[233:234]
	v_fma_f64 v[217:218], v[80:81], s[14:15], v[16:17]
	v_fma_f64 v[167:168], v[80:81], s[14:15], v[167:168]
	v_add_f64 v[184:185], v[106:107], v[102:103]
	v_add_f64 v[106:107], v[114:115], v[102:103]
	v_add_f64 v[34:35], v[34:35], v[102:103]
	v_add_f64 v[112:113], v[112:113], v[110:111]
	v_add_f64 v[104:105], v[104:105], v[110:111]
	s_waitcnt vmcnt(0) lgkmcnt(0)
	v_mul_f64 v[102:103], v[118:119], v[188:189]
	v_add_f64 v[36:37], v[36:37], v[110:111]
	v_mul_f64 v[110:111], v[98:99], v[188:189]
	ds_read2_b64 v[188:191], v166 offset0:98 offset1:147
	s_clause 0x3
	buffer_load_dword v4, off, s[28:31], 0 offset:52
	buffer_load_dword v5, off, s[28:31], 0 offset:56
	;; [unrolled: 1-line block ×4, first 2 shown]
	v_fma_f64 v[114:115], v[80:81], s[14:15], v[170:171]
	v_fma_f64 v[170:171], v[196:197], s[14:15], v[12:13]
	;; [unrolled: 1-line block ×4, first 2 shown]
	v_add_f64 v[196:197], v[199:200], v[173:174]
	v_add_f64 v[173:174], v[173:174], -v[199:200]
	v_add_f64 v[199:200], v[177:178], v[156:157]
	v_add_f64 v[219:220], v[207:208], v[158:159]
	v_fma_f64 v[86:87], v[18:19], v[182:183], v[24:25]
	v_fma_f64 v[88:89], v[82:83], v[182:183], -v[88:89]
	v_add_f64 v[182:183], v[203:204], -v[243:244]
	v_add_f64 v[203:204], v[209:210], -v[233:234]
	v_add_f64 v[233:234], v[142:143], v[140:141]
	v_fma_f64 v[80:81], v[98:99], v[186:187], v[102:103]
	v_add_f64 v[100:101], v[36:37], -v[167:168]
	v_fma_f64 v[82:83], v[118:119], v[186:187], -v[110:111]
	v_add_f64 v[102:103], v[217:218], v[104:105]
	v_add_f64 v[104:105], v[104:105], -v[217:218]
	v_add_f64 v[98:99], v[112:113], -v[114:115]
	v_add_f64 v[16:17], v[170:171], v[184:185]
	v_add_f64 v[18:19], v[106:107], -v[175:176]
	v_add_f64 v[24:25], v[175:176], v[106:107]
	v_add_f64 v[186:187], v[156:157], -v[196:197]
	v_add_f64 v[209:210], v[173:174], -v[180:181]
	v_add_f64 v[110:111], v[196:197], v[199:200]
	v_add_f64 v[118:119], v[201:202], v[219:220]
	v_add_f64 v[199:200], v[158:159], -v[201:202]
	v_add_f64 v[196:197], v[196:197], -v[177:178]
	;; [unrolled: 1-line block ×4, first 2 shown]
	v_add_f64 v[12:13], v[116:117], v[34:35]
	v_add_f64 v[34:35], v[34:35], -v[116:117]
	v_add_f64 v[116:117], v[173:174], v[180:181]
	v_add_f64 v[180:181], v[180:181], -v[182:183]
	v_add_f64 v[217:218], v[130:131], -v[203:204]
	v_add_f64 v[106:107], v[167:168], v[36:37]
	v_add_f64 v[36:37], v[184:185], -v[170:171]
	v_add_f64 v[167:168], v[152:153], v[249:250]
	v_add_f64 v[170:171], v[205:206], v[251:252]
	;; [unrolled: 1-line block ×4, first 2 shown]
	v_add_f64 v[156:157], v[177:178], -v[156:157]
	v_add_f64 v[158:159], v[207:208], -v[158:159]
	v_add_f64 v[130:131], v[194:195], v[130:131]
	v_mul_f64 v[177:178], v[186:187], s[4:5]
	v_mul_f64 v[209:210], v[209:210], s[16:17]
	v_add_f64 v[14:15], v[14:15], v[110:111]
	v_add_f64 v[108:109], v[108:109], v[118:119]
	v_mul_f64 v[186:187], v[199:200], s[4:5]
	v_mul_f64 v[199:200], v[196:197], s[12:13]
	;; [unrolled: 1-line block ×4, first 2 shown]
	v_add_f64 v[173:174], v[182:183], -v[173:174]
	v_add_f64 v[152:153], v[152:153], -v[249:250]
	;; [unrolled: 1-line block ×4, first 2 shown]
	v_add_f64 v[116:117], v[116:117], v[182:183]
	v_mul_f64 v[182:183], v[180:181], s[0:1]
	v_mul_f64 v[221:222], v[217:218], s[0:1]
	v_add_f64 v[205:206], v[205:206], -v[251:252]
	v_add_f64 v[215:216], v[247:248], -v[215:216]
	v_add_f64 v[227:228], v[184:185], v[167:168]
	v_add_f64 v[229:230], v[219:220], v[170:171]
	v_mov_b32_e32 v245, v9
	v_add_f64 v[130:131], v[130:131], v[203:204]
	v_fma_f64 v[196:197], v[196:197], s[12:13], v[177:178]
	v_fma_f64 v[180:181], v[180:181], s[0:1], -v[209:210]
	v_fma_f64 v[231:232], v[110:111], s[10:11], v[14:15]
	v_fma_f64 v[118:119], v[118:119], s[10:11], v[108:109]
	v_add_f64 v[110:111], v[114:115], v[112:113]
	v_fma_f64 v[199:200], v[156:157], s[6:7], -v[199:200]
	v_fma_f64 v[207:208], v[158:159], s[6:7], -v[207:208]
	;; [unrolled: 1-line block ×3, first 2 shown]
	v_add_f64 v[112:113], v[120:121], -v[192:193]
	v_add_f64 v[114:115], v[126:127], -v[211:212]
	v_fma_f64 v[120:121], v[156:157], s[18:19], -v[177:178]
	v_fma_f64 v[156:157], v[173:174], s[20:21], v[209:210]
	v_add_f64 v[209:210], v[213:214], -v[152:153]
	v_fma_f64 v[201:202], v[201:202], s[12:13], v[186:187]
	v_fma_f64 v[126:127], v[158:159], s[18:19], -v[186:187]
	v_fma_f64 v[158:159], v[194:195], s[20:21], v[175:176]
	v_fma_f64 v[173:174], v[173:174], s[22:23], -v[182:183]
	v_fma_f64 v[175:176], v[194:195], s[22:23], -v[221:222]
	v_add_f64 v[177:178], v[223:224], v[227:228]
	v_add_f64 v[182:183], v[225:226], v[229:230]
	v_add_f64 v[186:187], v[167:168], -v[223:224]
	v_add_f64 v[192:193], v[170:171], -v[225:226]
	;; [unrolled: 1-line block ×3, first 2 shown]
	v_fma_f64 v[180:181], v[116:117], s[14:15], v[180:181]
	v_add_f64 v[211:212], v[223:224], -v[184:185]
	v_add_f64 v[217:218], v[225:226], -v[219:220]
	;; [unrolled: 1-line block ×3, first 2 shown]
	v_add_f64 v[199:200], v[199:200], v[231:232]
	v_add_f64 v[207:208], v[207:208], v[118:119]
	v_fma_f64 v[203:204], v[130:131], s[14:15], v[203:204]
	v_add_f64 v[221:222], v[112:113], -v[215:216]
	v_add_f64 v[223:224], v[114:115], -v[213:214]
	v_add_f64 v[184:185], v[114:115], v[213:214]
	v_add_f64 v[213:214], v[112:113], v[215:216]
	v_add_f64 v[215:216], v[152:153], -v[114:115]
	v_mul_f64 v[225:226], v[209:210], s[0:1]
	v_add_f64 v[201:202], v[201:202], v[118:119]
	v_add_f64 v[170:171], v[219:220], -v[170:171]
	v_add_f64 v[219:220], v[205:206], -v[112:113]
	v_add_f64 v[120:121], v[120:121], v[231:232]
	v_add_f64 v[227:228], v[126:127], v[118:119]
	s_waitcnt lgkmcnt(0)
	v_add_f64 v[112:113], v[188:189], v[182:183]
	v_mul_f64 v[186:187], v[186:187], s[4:5]
	v_mul_f64 v[188:189], v[192:193], s[4:5]
	v_fma_f64 v[229:230], v[116:117], s[14:15], v[156:157]
	v_fma_f64 v[158:159], v[130:131], s[14:15], v[158:159]
	;; [unrolled: 1-line block ×3, first 2 shown]
	v_mul_f64 v[118:119], v[211:212], s[12:13]
	v_fma_f64 v[175:176], v[130:131], s[14:15], v[175:176]
	v_add_f64 v[196:197], v[196:197], v[231:232]
	v_add_f64 v[114:115], v[180:181], v[207:208]
	v_add_f64 v[126:127], v[199:200], -v[203:204]
	v_add_f64 v[130:131], v[203:204], v[199:200]
	v_add_f64 v[116:117], v[207:208], -v[180:181]
	v_add_f64 v[180:181], v[184:185], v[152:153]
	v_add_f64 v[199:200], v[213:214], v[205:206]
	v_mul_f64 v[231:232], v[217:218], s[12:13]
	v_fma_f64 v[213:214], v[215:216], s[22:23], -v[225:226]
	v_add_f64 v[225:226], v[144:145], v[136:137]
	v_mul_f64 v[221:222], v[221:222], s[16:17]
	v_mul_f64 v[223:224], v[223:224], s[16:17]
	;; [unrolled: 1-line block ×3, first 2 shown]
	v_fma_f64 v[203:204], v[182:183], s[10:11], v[112:113]
	v_fma_f64 v[205:206], v[167:168], s[18:19], -v[186:187]
	v_fma_f64 v[207:208], v[170:171], s[18:19], -v[188:189]
	ds_read2_b64 v[182:185], v166 offset0:196 offset1:245
	v_fma_f64 v[167:168], v[167:168], s[6:7], -v[118:119]
	v_add_f64 v[156:157], v[175:176], v[120:121]
	v_add_f64 v[118:119], v[227:228], -v[173:174]
	v_add_f64 v[152:153], v[120:121], -v[175:176]
	v_add_f64 v[120:121], v[173:174], v[227:228]
	v_fma_f64 v[173:174], v[211:212], s[12:13], v[186:187]
	v_fma_f64 v[175:176], v[217:218], s[12:13], v[188:189]
	v_add_f64 v[227:228], v[134:135], -v[146:147]
	v_fma_f64 v[170:171], v[170:171], s[6:7], -v[231:232]
	v_fma_f64 v[211:212], v[180:181], s[14:15], v[213:214]
	v_add_f64 v[213:214], v[146:147], v[134:135]
	v_add_f64 v[217:218], v[235:236], v[225:226]
	v_fma_f64 v[194:195], v[194:195], s[0:1], -v[221:222]
	v_fma_f64 v[186:187], v[215:216], s[20:21], v[223:224]
	v_fma_f64 v[188:189], v[219:220], s[20:21], v[221:222]
	v_add_f64 v[215:216], v[148:149], v[138:139]
	v_add_f64 v[221:222], v[132:133], -v[154:155]
	v_add_f64 v[154:155], v[158:159], v[196:197]
	v_add_f64 v[231:232], v[138:139], -v[148:149]
	v_add_f64 v[148:149], v[196:197], -v[158:159]
	v_fma_f64 v[192:193], v[219:220], s[22:23], -v[192:193]
	v_fma_f64 v[209:210], v[209:210], s[0:1], -v[223:224]
	v_add_f64 v[207:208], v[207:208], v[203:204]
	v_add_f64 v[219:220], v[237:238], v[233:234]
	v_add_f64 v[223:224], v[128:129], -v[150:151]
	v_add_f64 v[128:129], v[201:202], -v[229:230]
	v_add_f64 v[132:133], v[229:230], v[201:202]
	v_add_f64 v[175:176], v[175:176], v[203:204]
	;; [unrolled: 1-line block ×3, first 2 shown]
	v_add_f64 v[201:202], v[225:226], -v[213:214]
	v_add_f64 v[196:197], v[213:214], v[217:218]
	v_fma_f64 v[194:195], v[199:200], s[14:15], v[194:195]
	v_add_f64 v[213:214], v[213:214], -v[235:236]
	v_add_f64 v[217:218], v[237:238], -v[233:234]
	v_add_f64 v[203:204], v[233:234], -v[215:216]
	v_fma_f64 v[192:193], v[199:200], s[14:15], v[192:193]
	v_fma_f64 v[209:210], v[180:181], s[14:15], v[209:210]
	v_add_f64 v[134:135], v[207:208], -v[211:212]
	v_add_f64 v[138:139], v[170:171], -v[209:210]
	s_waitcnt vmcnt(2)
	v_add_f64 v[8:9], v[4:5], v[177:178]
	s_waitcnt vmcnt(0)
	v_add_f64 v[10:11], v[6:7], v[196:197]
	s_clause 0x3
	buffer_load_dword v4, off, s[28:31], 0 offset:36
	buffer_load_dword v5, off, s[28:31], 0 offset:40
	;; [unrolled: 1-line block ×4, first 2 shown]
	v_fma_f64 v[177:178], v[177:178], s[10:11], v[8:9]
	v_fma_f64 v[196:197], v[196:197], s[10:11], v[10:11]
	v_add_f64 v[205:206], v[205:206], v[177:178]
	v_add_f64 v[167:168], v[167:168], v[177:178]
	;; [unrolled: 1-line block ×3, first 2 shown]
	v_fma_f64 v[177:178], v[180:181], s[14:15], v[186:187]
	v_fma_f64 v[180:181], v[199:200], s[14:15], v[188:189]
	v_add_f64 v[186:187], v[144:145], -v[136:137]
	v_add_f64 v[188:189], v[142:143], -v[140:141]
	v_add_f64 v[199:200], v[215:216], v[219:220]
	v_add_f64 v[215:216], v[215:216], -v[237:238]
	v_add_f64 v[140:141], v[211:212], v[207:208]
	v_add_f64 v[207:208], v[78:79], v[74:75]
	;; [unrolled: 1-line block ×3, first 2 shown]
	v_add_f64 v[170:171], v[231:232], -v[223:224]
	v_add_f64 v[209:210], v[235:236], -v[225:226]
	;; [unrolled: 1-line block ×3, first 2 shown]
	v_add_f64 v[78:79], v[66:67], v[122:123]
	v_add_f64 v[66:67], v[122:123], -v[66:67]
	v_add_f64 v[146:147], v[192:193], v[205:206]
	v_add_f64 v[144:145], v[167:168], -v[194:195]
	;; [unrolled: 2-line block ×3, first 2 shown]
	v_add_f64 v[158:159], v[205:206], -v[192:193]
	v_add_f64 v[192:193], v[68:69], v[92:93]
	v_add_f64 v[194:195], v[70:71], v[94:95]
	;; [unrolled: 1-line block ×3, first 2 shown]
	v_add_f64 v[211:212], v[221:222], -v[186:187]
	v_add_f64 v[219:220], v[223:224], -v[188:189]
	v_add_f64 v[142:143], v[190:191], v[199:200]
	v_mul_f64 v[190:191], v[201:202], s[4:5]
	v_mul_f64 v[201:202], v[203:204], s[4:5]
	;; [unrolled: 1-line block ×4, first 2 shown]
	v_add_f64 v[221:222], v[227:228], v[221:222]
	v_add_f64 v[223:224], v[231:232], v[223:224]
	v_add_f64 v[227:228], v[186:187], -v[227:228]
	v_add_f64 v[229:230], v[188:189], -v[231:232]
	;; [unrolled: 1-line block ×3, first 2 shown]
	v_add_f64 v[76:77], v[64:65], v[124:125]
	v_add_f64 v[64:65], v[124:125], -v[64:65]
	v_mul_f64 v[170:171], v[170:171], s[16:17]
	v_add_f64 v[68:69], v[68:69], -v[92:93]
	v_add_f64 v[70:71], v[70:71], -v[94:95]
	v_mul_f64 v[167:168], v[167:168], s[16:17]
	v_add_f64 v[233:234], v[207:208], v[194:195]
	v_add_f64 v[231:232], v[205:206], v[192:193]
	v_mul_f64 v[124:125], v[211:212], s[0:1]
	v_mul_f64 v[122:123], v[219:220], s[0:1]
	v_fma_f64 v[199:200], v[199:200], s[10:11], v[142:143]
	v_fma_f64 v[213:214], v[213:214], s[12:13], v[190:191]
	;; [unrolled: 1-line block ×3, first 2 shown]
	v_fma_f64 v[203:204], v[209:210], s[6:7], -v[203:204]
	v_fma_f64 v[225:226], v[217:218], s[6:7], -v[225:226]
	;; [unrolled: 1-line block ×3, first 2 shown]
	v_add_f64 v[188:189], v[223:224], v[188:189]
	v_fma_f64 v[201:202], v[217:218], s[18:19], -v[201:202]
	v_add_f64 v[223:224], v[78:79], -v[207:208]
	v_add_f64 v[186:187], v[221:222], v[186:187]
	v_add_f64 v[209:210], v[180:181], v[173:174]
	v_add_f64 v[173:174], v[173:174], -v[180:181]
	v_fma_f64 v[221:222], v[229:230], s[20:21], v[170:171]
	v_fma_f64 v[170:171], v[219:220], s[0:1], -v[170:171]
	v_fma_f64 v[217:218], v[227:228], s[20:21], v[167:168]
	v_fma_f64 v[167:168], v[211:212], s[0:1], -v[167:168]
	v_add_f64 v[211:212], v[76:77], -v[205:206]
	v_add_f64 v[94:95], v[78:79], v[233:234]
	v_add_f64 v[92:93], v[76:77], v[231:232]
	v_add_f64 v[231:232], v[64:65], -v[72:73]
	v_add_f64 v[233:234], v[66:67], -v[74:75]
	v_fma_f64 v[124:125], v[227:228], s[22:23], -v[124:125]
	v_fma_f64 v[122:123], v[229:230], s[22:23], -v[122:123]
	v_add_f64 v[213:214], v[213:214], v[196:197]
	v_add_f64 v[203:204], v[203:204], v[196:197]
	;; [unrolled: 1-line block ×4, first 2 shown]
	v_add_f64 v[196:197], v[205:206], -v[192:193]
	v_add_f64 v[205:206], v[207:208], -v[194:195]
	v_add_f64 v[76:77], v[192:193], -v[76:77]
	v_add_f64 v[78:79], v[194:195], -v[78:79]
	v_add_f64 v[192:193], v[64:65], v[72:73]
	v_add_f64 v[194:195], v[66:67], v[74:75]
	v_add_f64 v[72:73], v[72:73], -v[68:69]
	v_add_f64 v[74:75], v[74:75], -v[70:71]
	v_mul_f64 v[225:226], v[223:224], s[12:13]
	v_fma_f64 v[221:222], v[188:189], s[14:15], v[221:222]
	v_fma_f64 v[217:218], v[186:187], s[14:15], v[217:218]
	v_mul_f64 v[207:208], v[211:212], s[12:13]
	s_waitcnt lgkmcnt(0)
	v_add_f64 v[182:183], v[182:183], v[94:95]
	v_fma_f64 v[170:171], v[188:189], s[14:15], v[170:171]
	v_mul_f64 v[227:228], v[231:232], s[16:17]
	v_mul_f64 v[229:230], v[233:234], s[16:17]
	v_fma_f64 v[167:168], v[186:187], s[14:15], v[167:168]
	v_fma_f64 v[122:123], v[188:189], s[14:15], v[122:123]
	;; [unrolled: 1-line block ×3, first 2 shown]
	v_add_f64 v[64:65], v[68:69], -v[64:65]
	v_add_f64 v[66:67], v[70:71], -v[66:67]
	v_add_f64 v[215:216], v[215:216], v[199:200]
	v_add_f64 v[199:200], v[201:202], v[199:200]
	v_add_f64 v[201:202], v[175:176], -v[177:178]
	v_mul_f64 v[76:77], v[76:77], s[4:5]
	v_mul_f64 v[78:79], v[78:79], s[4:5]
	v_add_f64 v[68:69], v[192:193], v[68:69]
	v_add_f64 v[70:71], v[194:195], v[70:71]
	v_mul_f64 v[186:187], v[72:73], s[0:1]
	v_mul_f64 v[188:189], v[74:75], s[0:1]
	v_fma_f64 v[194:195], v[205:206], s[6:7], -v[225:226]
	v_add_f64 v[175:176], v[177:178], v[175:176]
	v_add_f64 v[177:178], v[221:222], v[213:214]
	v_fma_f64 v[192:193], v[196:197], s[6:7], -v[207:208]
	v_fma_f64 v[94:95], v[94:95], s[10:11], v[182:183]
	v_add_f64 v[225:226], v[203:204], -v[170:171]
	v_fma_f64 v[72:73], v[72:73], s[0:1], -v[227:228]
	v_fma_f64 v[74:75], v[74:75], s[0:1], -v[229:230]
	v_add_f64 v[170:171], v[170:171], v[203:204]
	v_add_f64 v[207:208], v[122:123], v[190:191]
	;; [unrolled: 1-line block ×3, first 2 shown]
	v_add_f64 v[167:168], v[219:220], -v[167:168]
	v_add_f64 v[180:181], v[215:216], -v[217:218]
	;; [unrolled: 1-line block ×3, first 2 shown]
	v_fma_f64 v[211:212], v[211:212], s[12:13], v[76:77]
	v_fma_f64 v[223:224], v[223:224], s[12:13], v[78:79]
	v_fma_f64 v[76:77], v[196:197], s[18:19], -v[76:77]
	v_fma_f64 v[78:79], v[205:206], s[18:19], -v[78:79]
	v_fma_f64 v[196:197], v[64:65], s[20:21], v[227:228]
	v_fma_f64 v[205:206], v[66:67], s[20:21], v[229:230]
	v_fma_f64 v[64:65], v[64:65], s[22:23], -v[186:187]
	v_fma_f64 v[66:67], v[66:67], s[22:23], -v[188:189]
	v_add_f64 v[227:228], v[56:57], v[84:85]
	v_add_f64 v[229:230], v[58:59], v[90:91]
	;; [unrolled: 1-line block ×4, first 2 shown]
	v_fma_f64 v[72:73], v[68:69], s[14:15], v[72:73]
	v_fma_f64 v[74:75], v[70:71], s[14:15], v[74:75]
	v_add_f64 v[56:57], v[56:57], -v[84:85]
	v_add_f64 v[58:59], v[58:59], -v[90:91]
	;; [unrolled: 1-line block ×4, first 2 shown]
	v_add_f64 v[42:43], v[42:43], v[60:61]
	v_add_f64 v[46:47], v[46:47], v[62:63]
	v_add_f64 v[60:61], v[190:191], -v[122:123]
	v_add_f64 v[122:123], v[124:125], v[199:200]
	v_add_f64 v[62:63], v[213:214], -v[221:222]
	;; [unrolled: 2-line block ×3, first 2 shown]
	v_add_f64 v[221:222], v[26:27], v[86:87]
	v_add_f64 v[223:224], v[28:29], v[88:89]
	v_add_f64 v[124:125], v[217:218], v[215:216]
	v_fma_f64 v[64:65], v[68:69], s[14:15], v[64:65]
	v_add_f64 v[26:27], v[26:27], -v[86:87]
	v_add_f64 v[28:29], v[28:29], -v[88:89]
	v_add_f64 v[86:87], v[30:31], v[38:39]
	v_add_f64 v[88:89], v[32:33], v[40:41]
	v_add_f64 v[32:33], v[40:41], -v[32:33]
	v_add_f64 v[78:79], v[78:79], v[94:95]
	v_fma_f64 v[94:95], v[70:71], s[14:15], v[205:206]
	v_fma_f64 v[66:67], v[70:71], s[14:15], v[66:67]
	v_add_f64 v[30:31], v[38:39], -v[30:31]
	v_add_f64 v[70:71], v[84:85], v[56:57]
	v_add_f64 v[205:206], v[90:91], v[58:59]
	v_add_f64 v[215:216], v[42:43], -v[227:228]
	v_add_f64 v[213:214], v[194:195], -v[46:47]
	;; [unrolled: 1-line block ×6, first 2 shown]
	v_mul_f64 v[235:236], v[231:232], s[0:1]
	s_waitcnt vmcnt(2)
	v_add_f64 v[4:5], v[4:5], v[92:93]
	v_fma_f64 v[92:93], v[92:93], s[10:11], v[4:5]
	v_add_f64 v[186:187], v[192:193], v[92:93]
	v_add_f64 v[192:193], v[48:49], v[52:53]
	;; [unrolled: 1-line block ×4, first 2 shown]
	v_fma_f64 v[92:93], v[68:69], s[14:15], v[196:197]
	v_add_f64 v[48:49], v[48:49], -v[52:53]
	v_add_f64 v[196:197], v[72:73], v[188:189]
	v_add_f64 v[68:69], v[229:230], v[194:195]
	v_add_f64 v[194:195], v[229:230], -v[194:195]
	v_add_f64 v[229:230], v[90:91], -v[58:59]
	;; [unrolled: 1-line block ×4, first 2 shown]
	v_add_f64 v[50:51], v[205:206], v[50:51]
	v_mul_f64 v[205:206], v[217:218], s[12:13]
	v_add_f64 v[52:53], v[186:187], -v[74:75]
	v_add_f64 v[54:55], v[227:228], v[192:193]
	v_add_f64 v[211:212], v[192:193], -v[42:43]
	v_add_f64 v[74:75], v[74:75], v[186:187]
	v_add_f64 v[186:187], v[188:189], -v[72:73]
	v_add_f64 v[72:73], v[22:23], v[80:81]
	v_add_f64 v[188:189], v[44:45], v[82:83]
	v_add_f64 v[192:193], v[227:228], -v[192:193]
	v_add_f64 v[227:228], v[84:85], -v[56:57]
	v_add_f64 v[46:47], v[46:47], v[68:69]
	v_mul_f64 v[68:69], v[213:214], s[4:5]
	v_add_f64 v[22:23], v[22:23], -v[80:81]
	v_mul_f64 v[80:81], v[229:230], s[16:17]
	v_add_f64 v[84:85], v[48:49], -v[84:85]
	v_add_f64 v[56:57], v[56:57], -v[48:49]
	v_add_f64 v[48:49], v[70:71], v[48:49]
	v_mul_f64 v[70:71], v[215:216], s[12:13]
	v_fma_f64 v[205:206], v[194:195], s[6:7], -v[205:206]
	v_mul_f64 v[82:83], v[58:59], s[0:1]
	v_add_f64 v[239:240], v[199:200], -v[92:93]
	v_add_f64 v[42:43], v[42:43], v[54:55]
	v_mul_f64 v[54:55], v[211:212], s[4:5]
	v_add_f64 v[211:212], v[221:222], v[72:73]
	v_add_f64 v[213:214], v[223:224], v[188:189]
	v_add_f64 v[229:230], v[188:189], -v[88:89]
	v_mul_f64 v[40:41], v[227:228], s[16:17]
	v_add_f64 v[227:228], v[72:73], -v[86:87]
	v_add_f64 v[72:73], v[221:222], -v[72:73]
	;; [unrolled: 1-line block ×3, first 2 shown]
	v_add_f64 v[184:185], v[184:185], v[46:47]
	v_fma_f64 v[217:218], v[217:218], s[12:13], v[68:69]
	v_fma_f64 v[68:69], v[194:195], s[18:19], -v[68:69]
	v_add_f64 v[194:195], v[30:31], -v[26:27]
	v_fma_f64 v[70:71], v[192:193], s[6:7], -v[70:71]
	v_add_f64 v[233:234], v[26:27], -v[22:23]
	v_mul_f64 v[44:45], v[56:57], s[0:1]
	v_add_f64 v[26:27], v[30:31], v[26:27]
	v_add_f64 v[30:31], v[22:23], -v[30:31]
	v_fma_f64 v[58:59], v[58:59], s[0:1], -v[80:81]
	v_fma_f64 v[80:81], v[90:91], s[20:21], v[80:81]
	s_waitcnt vmcnt(0)
	v_add_f64 v[6:7], v[6:7], v[42:43]
	v_fma_f64 v[215:216], v[215:216], s[12:13], v[54:55]
	v_fma_f64 v[54:55], v[192:193], s[18:19], -v[54:55]
	v_add_f64 v[192:193], v[32:33], -v[28:29]
	v_add_f64 v[211:212], v[86:87], v[211:212]
	v_add_f64 v[213:214], v[88:89], v[213:214]
	v_add_f64 v[86:87], v[86:87], -v[221:222]
	v_add_f64 v[88:89], v[88:89], -v[223:224]
	s_clause 0x3
	buffer_load_dword v221, off, s[28:31], 0 offset:68
	buffer_load_dword v222, off, s[28:31], 0 offset:72
	;; [unrolled: 1-line block ×4, first 2 shown]
	s_waitcnt vmcnt(0)
	s_waitcnt_vscnt null, 0x0
	s_barrier
	buffer_gl0_inv
	ds_write2_b64 v166, v[2:3], v[16:17] offset1:49
	ds_write2_b64 v166, v[12:13], v[18:19] offset0:98 offset1:147
	ds_write2_b64 v166, v[24:25], v[34:35] offset0:196 offset1:245
	ds_write2_b64 v198, v[36:37], v[14:15] offset0:38 offset1:87
	ds_write2_b64 v198, v[154:155], v[156:157] offset0:136 offset1:185
	buffer_load_dword v12, off, s[28:31], 0 offset:20 ; 4-byte Folded Reload
	v_add_f64 v[28:29], v[32:33], v[28:29]
	v_fma_f64 v[46:47], v[46:47], s[10:11], v[184:185]
	v_mul_f64 v[223:224], v[229:230], s[4:5]
	v_add_f64 v[32:33], v[38:39], -v[32:33]
	v_mul_f64 v[194:195], v[194:195], s[16:17]
	v_mul_f64 v[237:238], v[233:234], s[0:1]
	v_fma_f64 v[56:57], v[56:57], s[0:1], -v[40:41]
	v_fma_f64 v[42:43], v[42:43], s[10:11], v[6:7]
	v_fma_f64 v[40:41], v[84:85], s[20:21], v[40:41]
	v_fma_f64 v[44:45], v[84:85], s[22:23], -v[44:45]
	v_mul_f64 v[192:193], v[192:193], s[16:17]
	v_fma_f64 v[82:83], v[90:91], s[22:23], -v[82:83]
	v_add_f64 v[22:23], v[26:27], v[22:23]
	v_add_f64 v[84:85], v[94:95], v[190:191]
	v_mul_f64 v[229:230], v[88:89], s[12:13]
	v_add_f64 v[26:27], v[66:67], v[76:77]
	v_add_f64 v[66:67], v[76:77], -v[66:67]
	v_lshl_add_u32 v2, v161, 3, 0
	v_lshl_add_u32 v19, v163, 3, 0
	v_add_f64 v[28:29], v[28:29], v[38:39]
	v_add_f64 v[90:91], v[217:218], v[46:47]
	v_fma_f64 v[88:89], v[88:89], s[12:13], v[223:224]
	v_add_f64 v[205:206], v[205:206], v[46:47]
	v_add_f64 v[46:47], v[68:69], v[46:47]
	v_add_nc_u32_e32 v17, 0x1800, v2
	v_add_nc_u32_e32 v3, 0x1000, v2
	v_add_f64 v[38:39], v[215:216], v[42:43]
	v_add_f64 v[70:71], v[70:71], v[42:43]
	v_add_f64 v[42:43], v[54:55], v[42:43]
	v_fma_f64 v[54:55], v[50:51], s[14:15], v[80:81]
	v_fma_f64 v[40:41], v[48:49], s[14:15], v[40:41]
	;; [unrolled: 1-line block ×4, first 2 shown]
	v_fma_f64 v[217:218], v[188:189], s[6:7], -v[229:230]
	v_fma_f64 v[68:69], v[50:51], s[14:15], v[82:83]
	v_fma_f64 v[50:51], v[50:51], s[14:15], v[58:59]
	v_add_f64 v[76:77], v[54:55], v[38:39]
	v_add_f64 v[38:39], v[38:39], -v[54:55]
	v_add_f64 v[0:1], v[221:222], v[211:212]
	v_add_f64 v[221:222], v[20:21], v[213:214]
	v_mul_f64 v[20:21], v[227:228], s[4:5]
	v_mul_f64 v[227:228], v[86:87], s[12:13]
	s_waitcnt vmcnt(0)
	v_lshl_add_u32 v16, v12, 3, 0
	v_add_nc_u32_e32 v12, 0xc00, v166
	v_add_nc_u32_e32 v18, 0x2000, v16
	ds_write2_b64 v12, v[126:127], v[130:131] offset0:106 offset1:155
	v_lshl_add_u32 v127, v172, 3, 0
	v_lshl_add_u32 v131, v165, 3, 0
	ds_write2_b64 v255, v[152:153], v[148:149] offset0:76 offset1:125
	ds_write2_b64 v3, v[8:9], v[209:210] offset0:174 offset1:223
	;; [unrolled: 1-line block ×4, first 2 shown]
	ds_write_b64 v2, v[173:174] offset:7840
	ds_write2_b64 v18, v[10:11], v[177:178] offset0:5 offset1:54
	v_add_nc_u32_e32 v126, 0x2800, v19
	v_add_nc_u32_e32 v130, 0x3000, v19
	;; [unrolled: 1-line block ×5, first 2 shown]
	v_fma_f64 v[211:212], v[211:212], s[10:11], v[0:1]
	v_fma_f64 v[213:214], v[213:214], s[10:11], v[221:222]
	;; [unrolled: 1-line block ×3, first 2 shown]
	v_fma_f64 v[215:216], v[72:73], s[6:7], -v[227:228]
	v_fma_f64 v[20:21], v[72:73], s[18:19], -v[20:21]
	;; [unrolled: 1-line block ×3, first 2 shown]
	v_fma_f64 v[188:189], v[32:33], s[20:21], v[192:193]
	v_fma_f64 v[32:33], v[32:33], s[22:23], -v[235:236]
	v_fma_f64 v[192:193], v[231:232], s[0:1], -v[192:193]
	v_fma_f64 v[223:224], v[30:31], s[20:21], v[194:195]
	v_fma_f64 v[30:31], v[30:31], s[22:23], -v[237:238]
	v_fma_f64 v[194:195], v[233:234], s[0:1], -v[194:195]
	ds_write2_b64 v18, v[207:208], v[225:226] offset0:103 offset1:152
	ds_write2_b64 v18, v[170:171], v[60:61] offset0:201 offset1:250
	ds_write_b64 v16, v[62:63] offset:10584
	ds_write2_b64 v126, v[4:5], v[84:85] offset0:92 offset1:141
	ds_write2_b64 v126, v[26:27], v[52:53] offset0:190 offset1:239
	v_mov_b32_e32 v172, v160
	v_mov_b32_e32 v178, v198
	;; [unrolled: 1-line block ×3, first 2 shown]
	v_add_f64 v[58:59], v[88:89], v[213:214]
	v_add_f64 v[56:57], v[86:87], v[211:212]
	;; [unrolled: 1-line block ×5, first 2 shown]
	v_fma_f64 v[86:87], v[28:29], s[14:15], v[188:189]
	v_fma_f64 v[32:33], v[28:29], s[14:15], v[32:33]
	;; [unrolled: 1-line block ×6, first 2 shown]
	v_add_f64 v[194:195], v[46:47], -v[44:45]
	v_add_f64 v[211:212], v[44:45], v[46:47]
	v_add_f64 v[72:73], v[72:73], v[213:214]
	;; [unrolled: 1-line block ×3, first 2 shown]
	v_add_f64 v[64:65], v[190:191], -v[94:95]
	v_add_f64 v[190:191], v[92:93], v[199:200]
	v_add_f64 v[192:193], v[90:91], -v[40:41]
	v_add_f64 v[78:79], v[68:69], v[42:43]
	;; [unrolled: 2-line block ×3, first 2 shown]
	v_add_f64 v[50:51], v[50:51], v[70:71]
	v_add_f64 v[42:43], v[42:43], -v[68:69]
	ds_write2_b64 v130, v[74:75], v[66:67] offset0:32 offset1:81
	ds_write_b64 v19, v[64:65] offset:13328
	v_add_f64 v[44:45], v[32:33], v[20:21]
	v_add_f64 v[46:47], v[80:81], -v[28:29]
	v_add_f64 v[40:41], v[86:87], v[56:57]
	v_add_f64 v[28:29], v[28:29], v[80:81]
	v_add_f64 v[20:21], v[20:21], -v[32:33]
	v_add_f64 v[223:224], v[22:23], v[82:83]
	v_add_f64 v[227:228], v[82:83], -v[22:23]
	v_add_f64 v[22:23], v[56:57], -v[86:87]
	ds_write2_b64 v144, v[6:7], v[76:77] offset0:179 offset1:228
	ds_write2_b64 v145, v[78:79], v[92:93] offset0:21 offset1:70
	;; [unrolled: 1-line block ×3, first 2 shown]
	v_mov_b32_e32 v43, v12
	ds_write_b64 v127, v[38:39] offset:16072
	ds_write2_b64 v146, v[0:1], v[40:41] offset0:10 offset1:59
	ds_write2_b64 v146, v[44:45], v[46:47] offset0:108 offset1:157
	;; [unrolled: 1-line block ×3, first 2 shown]
	ds_write_b64 v131, v[22:23] offset:18816
	s_waitcnt lgkmcnt(0)
	s_barrier
	buffer_gl0_inv
	ds_read2_b64 v[147:150], v166 offset1:49
	ds_read2_b64 v[6:9], v198 offset0:38 offset1:87
	ds_read2_b64 v[10:13], v255 offset0:174 offset1:223
	v_add_nc_u32_e32 v0, 0x2800, v166
	v_add_nc_u32_e32 v1, 0x3400, v166
	s_waitcnt lgkmcnt(0)
	buffer_store_dword v10, off, s[28:31], 0 offset:20 ; 4-byte Folded Spill
	buffer_store_dword v11, off, s[28:31], 0 offset:24 ; 4-byte Folded Spill
	;; [unrolled: 1-line block ×4, first 2 shown]
	v_add_f64 v[217:218], v[72:73], -v[30:31]
	v_add_f64 v[229:230], v[30:31], v[72:73]
	v_mov_b32_e32 v40, v254
	ds_read2_b64 v[24:27], v254 offset0:84 offset1:133
	ds_read2_b64 v[251:254], v0 offset0:92 offset1:141
	;; [unrolled: 1-line block ×8, first 2 shown]
	v_add_nc_u32_e32 v1, 0x1800, v166
	v_add_f64 v[199:200], v[48:49], v[205:206]
	v_add_f64 v[205:206], v[205:206], -v[48:49]
	v_add_f64 v[215:216], v[58:59], -v[88:89]
	v_add_f64 v[231:232], v[88:89], v[58:59]
	ds_read2_b64 v[48:51], v1 offset0:16 offset1:65
	ds_read2_b64 v[52:55], v0 offset0:190 offset1:239
	;; [unrolled: 1-line block ×13, first 2 shown]
	ds_read_b64 v[4:5], v166 offset:18816
	v_mov_b32_e32 v42, v164
	v_mov_b32_e32 v165, v0
	;; [unrolled: 1-line block ×3, first 2 shown]
	s_waitcnt lgkmcnt(0)
	s_waitcnt_vscnt null, 0x0
	s_barrier
	buffer_gl0_inv
	ds_write2_b64 v166, v[96:97], v[98:99] offset1:49
	ds_write2_b64 v166, v[100:101], v[102:103] offset0:98 offset1:147
	ds_write2_b64 v166, v[104:105], v[106:107] offset0:196 offset1:245
	;; [unrolled: 1-line block ×9, first 2 shown]
	ds_write_b64 v2, v[175:176] offset:7840
	ds_write2_b64 v18, v[142:143], v[180:181] offset0:5 offset1:54
	ds_write2_b64 v18, v[219:220], v[203:204] offset0:103 offset1:152
	ds_write2_b64 v18, v[167:168], v[122:123] offset0:201 offset1:250
	ds_write_b64 v16, v[124:125] offset:10584
	ds_write2_b64 v126, v[182:183], v[239:240] offset0:92 offset1:141
	ds_write2_b64 v126, v[241:242], v[196:197] offset0:190 offset1:239
	ds_write2_b64 v130, v[186:187], v[188:189] offset0:32 offset1:81
	;; [unrolled: 4-line block ×4, first 2 shown]
	ds_write_b64 v131, v[231:232] offset:18816
	s_waitcnt lgkmcnt(0)
	s_barrier
	buffer_gl0_inv
	s_and_saveexec_b32 s24, vcc_lo
	s_cbranch_execz .LBB0_13
; %bb.12:
	s_clause 0x1
	buffer_load_dword v0, off, s[28:31], 0 offset:8
	buffer_load_dword v1, off, s[28:31], 0 offset:12
	v_mov_b32_e32 v157, 0
	v_mov_b32_e32 v255, v165
	;; [unrolled: 1-line block ×3, first 2 shown]
	s_waitcnt vmcnt(0)
	v_add_nc_u32_e32 v1, 0x126, v0
	v_mul_u32_u24_e32 v0, 6, v1
	v_mad_u32_u24 v156, v1, 6, 0xfffffeda
	v_mov_b32_e32 v2, v1
	v_lshlrev_b32_e32 v0, 4, v0
	v_lshlrev_b64 v[102:103], 4, v[156:157]
	v_mad_u32_u24 v156, v2, 6, 0xfffffdb4
	v_add_co_u32 v163, s24, s8, v0
	v_add_co_ci_u32_e64 v164, null, s9, 0, s24
	v_lshlrev_b64 v[120:121], 4, v[156:157]
	v_add_co_u32 v100, vcc_lo, 0x1000, v163
	v_add_co_ci_u32_e32 v101, vcc_lo, 0, v164, vcc_lo
	v_add_co_u32 v0, vcc_lo, s8, v102
	v_add_co_ci_u32_e32 v1, vcc_lo, s9, v103, vcc_lo
	global_load_dwordx4 v[96:99], v[100:101], off offset:1280
	v_add_co_u32 v108, vcc_lo, 0x1000, v0
	v_add_co_ci_u32_e32 v109, vcc_lo, 0, v1, vcc_lo
	v_add_co_u32 v160, vcc_lo, 0x1500, v163
	s_clause 0x2
	global_load_dwordx4 v[104:107], v[108:109], off offset:1280
	global_load_dwordx4 v[100:103], v[100:101], off offset:1344
	;; [unrolled: 1-line block ×3, first 2 shown]
	v_add_co_ci_u32_e32 v161, vcc_lo, 0, v164, vcc_lo
	v_add_co_u32 v136, vcc_lo, 0x1500, v0
	v_add_co_ci_u32_e32 v137, vcc_lo, 0, v1, vcc_lo
	s_clause 0x1
	global_load_dwordx4 v[112:115], v[160:161], off offset:32
	global_load_dwordx4 v[108:111], v[136:137], off offset:32
	v_add_co_u32 v122, vcc_lo, 0x1540, v0
	v_add_co_ci_u32_e32 v123, vcc_lo, 0, v1, vcc_lo
	v_add_co_u32 v0, vcc_lo, s8, v120
	v_add_co_ci_u32_e32 v1, vcc_lo, s9, v121, vcc_lo
	global_load_dwordx4 v[120:123], v[122:123], off offset:16
	v_add_co_u32 v124, vcc_lo, 0x1540, v0
	v_add_co_ci_u32_e32 v125, vcc_lo, 0, v1, vcc_lo
	s_clause 0x1
	global_load_dwordx4 v[132:135], v[124:125], off offset:16
	global_load_dwordx4 v[128:131], v[136:137], off offset:16
	v_add_co_u32 v167, vcc_lo, 0x1500, v0
	v_add_co_ci_u32_e32 v168, vcc_lo, 0, v1, vcc_lo
	v_add_co_u32 v138, vcc_lo, 0x1000, v0
	v_mad_u32_u24 v156, v2, 6, 0xfffffc8e
	global_load_dwordx4 v[124:127], v[167:168], off offset:16
	buffer_store_dword v147, off, s[28:31], 0 offset:36 ; 4-byte Folded Spill
	buffer_store_dword v148, off, s[28:31], 0 offset:40 ; 4-byte Folded Spill
	;; [unrolled: 1-line block ×8, first 2 shown]
	global_load_dwordx4 v[148:151], v[136:137], off offset:48
	v_add_co_ci_u32_e32 v139, vcc_lo, 0, v1, vcc_lo
	s_clause 0x1
	global_load_dwordx4 v[152:155], v[167:168], off offset:48
	global_load_dwordx4 v[140:143], v[138:139], off offset:1280
	v_lshlrev_b64 v[136:137], 4, v[156:157]
	v_mad_u32_u24 v156, v2, 6, 0xfffffb68
	v_add_co_u32 v0, vcc_lo, s8, v136
	v_add_co_ci_u32_e32 v1, vcc_lo, s9, v137, vcc_lo
	v_add_co_u32 v170, vcc_lo, 0x1000, v0
	v_add_co_ci_u32_e32 v171, vcc_lo, 0, v1, vcc_lo
	s_clause 0x2
	global_load_dwordx4 v[144:147], v[170:171], off offset:1280
	global_load_dwordx4 v[136:139], v[138:139], off offset:1344
	;; [unrolled: 1-line block ×3, first 2 shown]
	v_add_co_u32 v170, vcc_lo, 0x1500, v0
	v_add_co_ci_u32_e32 v171, vcc_lo, 0, v1, vcc_lo
	v_add_co_u32 v163, vcc_lo, 0x1540, v163
	v_add_co_ci_u32_e32 v164, vcc_lo, 0, v164, vcc_lo
	s_clause 0x1
	global_load_dwordx4 v[186:189], v[167:168], off offset:32
	global_load_dwordx4 v[190:193], v[170:171], off offset:32
	buffer_store_dword v2, off, s[28:31], 0 offset:120 ; 4-byte Folded Spill
	s_clause 0x1
	global_load_dwordx4 v[199:202], v[160:161], off offset:16
	global_load_dwordx4 v[203:206], v[163:164], off offset:16
	v_lshlrev_b64 v[167:168], 4, v[156:157]
	v_add_co_u32 v163, vcc_lo, 0x1540, v0
	v_add_co_ci_u32_e32 v164, vcc_lo, 0, v1, vcc_lo
	buffer_store_dword v6, off, s[28:31], 0 offset:88 ; 4-byte Folded Spill
	buffer_store_dword v7, off, s[28:31], 0 offset:92 ; 4-byte Folded Spill
	;; [unrolled: 1-line block ×4, first 2 shown]
	v_add_co_u32 v0, vcc_lo, s8, v167
	v_add_co_ci_u32_e32 v1, vcc_lo, s9, v168, vcc_lo
	s_clause 0x1
	global_load_dwordx4 v[207:210], v[160:161], off offset:48
	global_load_dwordx4 v[215:218], v[163:164], off offset:16
	v_add_co_u32 v160, vcc_lo, 0x1540, v0
	v_add_co_ci_u32_e32 v161, vcc_lo, 0, v1, vcc_lo
	v_add_co_u32 v163, vcc_lo, 0x1500, v0
	v_add_co_ci_u32_e32 v164, vcc_lo, 0, v1, vcc_lo
	ds_read2_b64 v[211:214], v173 offset0:76 offset1:125
	s_clause 0x4
	global_load_dwordx4 v[219:222], v[170:171], off offset:48
	global_load_dwordx4 v[223:226], v[170:171], off offset:16
	global_load_dwordx4 v[227:230], v[160:161], off offset:16
	global_load_dwordx4 v[231:234], v[163:164], off offset:48
	global_load_dwordx4 v[235:238], v[163:164], off offset:16
	v_mad_u32_u24 v156, v2, 6, 0xfffffa42
	v_add_co_u32 v170, vcc_lo, 0x1000, v0
	v_add_co_ci_u32_e32 v171, vcc_lo, 0, v1, vcc_lo
	v_lshlrev_b64 v[167:168], 4, v[156:157]
	global_load_dwordx4 v[239:242], v[170:171], off offset:1280
	v_add_co_u32 v156, vcc_lo, s8, v167
	v_add_co_ci_u32_e32 v177, vcc_lo, s9, v168, vcc_lo
	v_add_co_u32 v167, vcc_lo, 0x1000, v156
	v_add_co_ci_u32_e32 v168, vcc_lo, 0, v177, vcc_lo
	s_waitcnt vmcnt(27) lgkmcnt(0)
	v_mul_f64 v[160:161], v[98:99], v[213:214]
	v_mul_f64 v[98:99], v[94:95], v[98:99]
	v_fma_f64 v[173:174], v[94:95], v[96:97], v[160:161]
	v_fma_f64 v[194:195], v[96:97], v[213:214], -v[98:99]
	global_load_dwordx4 v[94:97], v[167:168], off offset:1280
	s_waitcnt vmcnt(27)
	v_mul_f64 v[98:99], v[106:107], v[211:212]
	v_mov_b32_e32 v160, v41
	s_waitcnt vmcnt(17)
	v_mul_f64 v[2:3], v[72:73], v[154:155]
	v_fma_f64 v[196:197], v[92:93], v[104:105], v[98:99]
	v_mul_f64 v[92:93], v[92:93], v[106:107]
	v_mul_f64 v[98:99], v[90:91], v[102:103]
	v_fma_f64 v[211:212], v[104:105], v[211:212], -v[92:93]
	ds_read2_b64 v[104:107], v42 offset0:168 offset1:217
	s_waitcnt lgkmcnt(0)
	v_mul_f64 v[92:93], v[102:103], v[106:107]
	v_mul_f64 v[102:103], v[118:119], v[104:105]
	v_fma_f64 v[243:244], v[100:101], v[106:107], -v[98:99]
	v_mul_f64 v[98:99], v[88:89], v[118:119]
	v_mul_f64 v[106:107], v[84:85], v[110:111]
	s_waitcnt vmcnt(6)
	v_mul_f64 v[175:176], v[54:55], v[221:222]
	v_fma_f64 v[213:214], v[90:91], v[100:101], v[92:93]
	ds_read2_b64 v[90:93], v245 offset0:122 offset1:171
	v_fma_f64 v[245:246], v[88:89], v[116:117], v[102:103]
	v_mul_f64 v[102:103], v[86:87], v[114:115]
	s_waitcnt lgkmcnt(0)
	v_mul_f64 v[88:89], v[114:115], v[92:93]
	v_fma_f64 v[114:115], v[116:117], v[104:105], -v[98:99]
	v_mul_f64 v[104:105], v[110:111], v[90:91]
	ds_read2_b64 v[98:101], v169 offset0:206 offset1:255
	v_fma_f64 v[92:93], v[112:113], v[92:93], -v[102:103]
	v_fma_f64 v[110:111], v[86:87], v[112:113], v[88:89]
	v_mul_f64 v[112:113], v[82:83], v[122:123]
	v_fma_f64 v[116:117], v[84:85], v[108:109], v[104:105]
	ds_read2_b64 v[84:87], v41 offset0:114 offset1:163
	s_waitcnt lgkmcnt(1)
	v_mul_f64 v[102:103], v[122:123], v[100:101]
	v_fma_f64 v[122:123], v[108:109], v[90:91], -v[106:107]
	v_mul_f64 v[104:105], v[134:135], v[98:99]
	ds_read2_b64 v[88:91], v179 offset0:32 offset1:81
	v_mul_f64 v[106:107], v[80:81], v[134:135]
	s_waitcnt lgkmcnt(1)
	v_mul_f64 v[108:109], v[126:127], v[84:85]
	v_fma_f64 v[249:250], v[120:121], v[100:101], -v[112:113]
	v_mul_f64 v[100:101], v[130:131], v[86:87]
	v_mul_f64 v[112:113], v[76:77], v[126:127]
	s_waitcnt lgkmcnt(0)
	v_mul_f64 v[118:119], v[150:151], v[90:91]
	v_fma_f64 v[247:248], v[82:83], v[120:121], v[102:103]
	v_fma_f64 v[14:15], v[80:81], v[132:133], v[104:105]
	ds_read2_b64 v[80:83], v43 offset0:106 offset1:155
	v_mul_f64 v[120:121], v[74:75], v[150:151]
	v_mul_f64 v[102:103], v[78:79], v[130:131]
	v_fma_f64 v[98:99], v[132:133], v[98:99], -v[106:107]
	s_clause 0x3
	buffer_load_dword v6, off, s[28:31], 0 offset:20
	buffer_load_dword v7, off, s[28:31], 0 offset:24
	buffer_load_dword v8, off, s[28:31], 0 offset:28
	buffer_load_dword v9, off, s[28:31], 0 offset:32
	ds_read2_b64 v[104:107], v42 offset0:70 offset1:119
	v_mul_f64 v[130:131], v[64:65], v[184:185]
	v_fma_f64 v[2:3], v[152:153], v[88:89], -v[2:3]
	v_fma_f64 v[0:1], v[76:77], v[124:125], v[108:109]
	v_fma_f64 v[158:159], v[78:79], v[128:129], v[100:101]
	v_mul_f64 v[100:101], v[154:155], v[88:89]
	v_fma_f64 v[84:85], v[124:125], v[84:85], -v[112:113]
	s_waitcnt lgkmcnt(1)
	v_mul_f64 v[124:125], v[146:147], v[80:81]
	v_fma_f64 v[16:17], v[74:75], v[148:149], v[118:119]
	v_mul_f64 v[74:75], v[68:69], v[146:147]
	v_mul_f64 v[108:109], v[142:143], v[82:83]
	;; [unrolled: 1-line block ×3, first 2 shown]
	v_fma_f64 v[86:87], v[128:129], v[86:87], -v[102:103]
	ds_read_b64 v[128:129], v166 offset:18816
	ds_read2_b64 v[76:79], v172 offset0:152 offset1:201
	v_fma_f64 v[18:19], v[148:149], v[90:91], -v[120:121]
	s_waitcnt lgkmcnt(2)
	v_mul_f64 v[90:91], v[138:139], v[106:107]
	v_mul_f64 v[126:127], v[184:185], v[104:105]
	ds_read2_b64 v[118:121], v179 offset0:130 offset1:179
	v_mov_b32_e32 v89, v27
	v_mov_b32_e32 v88, v26
	v_fma_f64 v[134:135], v[72:73], v[152:153], v[100:101]
	v_mul_f64 v[72:73], v[66:67], v[138:139]
	v_fma_f64 v[142:143], v[68:69], v[144:145], v[124:125]
	ds_read2_b64 v[100:103], v40 offset0:84 offset1:133
	v_fma_f64 v[68:69], v[144:145], v[80:81], -v[74:75]
	v_mul_f64 v[80:81], v[60:61], v[192:193]
	v_fma_f64 v[42:43], v[140:141], v[82:83], -v[112:113]
	s_waitcnt lgkmcnt(2)
	v_mul_f64 v[112:113], v[192:193], v[76:77]
	v_fma_f64 v[40:41], v[70:71], v[140:141], v[108:109]
	v_mul_f64 v[82:83], v[188:189], v[78:79]
	buffer_store_dword v68, off, s[28:31], 0 offset:124 ; 4-byte Folded Spill
	buffer_store_dword v69, off, s[28:31], 0 offset:128 ; 4-byte Folded Spill
	v_fma_f64 v[124:125], v[136:137], v[106:107], -v[72:73]
	v_mul_f64 v[106:107], v[205:206], v[128:129]
	ds_read2_b64 v[72:75], v165 offset0:190 offset1:239
	v_fma_f64 v[90:91], v[66:67], v[136:137], v[90:91]
	v_fma_f64 v[144:145], v[64:65], v[182:183], v[126:127]
	ds_read2_b64 v[64:67], v160 offset0:16 offset1:65
	ds_read2_b64 v[68:71], v169 offset0:108 offset1:157
	v_mul_f64 v[108:109], v[62:63], v[188:189]
	v_fma_f64 v[140:141], v[182:183], v[104:105], -v[130:131]
	v_mul_f64 v[104:105], v[4:5], v[205:206]
	v_fma_f64 v[138:139], v[60:61], v[190:191], v[112:113]
	v_mul_f64 v[112:113], v[58:59], v[217:218]
	v_fma_f64 v[146:147], v[190:191], v[76:77], -v[80:81]
	s_waitcnt lgkmcnt(4)
	v_mul_f64 v[148:149], v[209:210], v[118:119]
	v_fma_f64 v[82:83], v[62:63], v[186:187], v[82:83]
	ds_read2_b64 v[60:63], v178 offset0:136 offset1:185
	s_waitcnt lgkmcnt(4)
	v_mul_f64 v[126:127], v[201:202], v[100:101]
	v_mul_f64 v[136:137], v[24:25], v[201:202]
	s_waitcnt vmcnt(9)
	v_mul_f64 v[152:153], v[50:51], v[225:226]
	v_add_f64 v[192:193], v[40:41], v[14:15]
	v_add_f64 v[40:41], v[40:41], -v[14:15]
	s_waitcnt lgkmcnt(3)
	v_mul_f64 v[154:155], v[221:222], v[74:75]
	v_fma_f64 v[184:185], v[4:5], v[203:204], v[106:107]
	s_waitcnt vmcnt(7)
	v_mul_f64 v[4:5], v[233:234], v[72:73]
	s_waitcnt lgkmcnt(2)
	v_mul_f64 v[80:81], v[225:226], v[66:67]
	s_waitcnt lgkmcnt(1)
	v_mul_f64 v[150:151], v[217:218], v[70:71]
	v_fma_f64 v[188:189], v[186:187], v[78:79], -v[108:109]
	v_mul_f64 v[78:79], v[36:37], v[209:210]
	v_fma_f64 v[186:187], v[203:204], v[128:129], -v[104:105]
	s_clause 0x1
	global_load_dwordx4 v[130:133], v[163:164], off offset:32
	global_load_dwordx4 v[104:107], v[170:171], off offset:1344
	s_waitcnt vmcnt(8)
	v_mul_f64 v[170:171], v[237:238], v[64:65]
	v_add_co_u32 v108, s8, s8, v162
	v_mul_f64 v[162:163], v[229:230], v[68:69]
	v_fma_f64 v[26:27], v[215:216], v[70:71], -v[112:113]
	v_mul_f64 v[70:71], v[56:57], v[229:230]
	v_add_co_ci_u32_e64 v109, null, s9, 0, s8
	v_fma_f64 v[190:191], v[36:37], v[207:208], v[148:149]
	v_fma_f64 v[164:165], v[24:25], v[199:200], v[126:127]
	v_fma_f64 v[100:101], v[199:200], v[100:101], -v[136:137]
	v_fma_f64 v[152:153], v[223:224], v[66:67], -v[152:153]
	v_fma_f64 v[148:149], v[54:55], v[219:220], v[154:155]
	v_fma_f64 v[4:5], v[52:53], v[231:232], v[4:5]
	;; [unrolled: 1-line block ×3, first 2 shown]
	v_mul_f64 v[50:51], v[48:49], v[237:238]
	v_fma_f64 v[36:37], v[58:59], v[215:216], v[150:151]
	v_add_co_u32 v58, vcc_lo, 0x1500, v156
	v_add_co_ci_u32_e32 v59, vcc_lo, 0, v177, vcc_lo
	v_fma_f64 v[118:119], v[207:208], v[118:119], -v[78:79]
	v_fma_f64 v[150:151], v[48:49], v[235:236], v[170:171]
	v_add_co_u32 v48, vcc_lo, 0x1540, v108
	v_add_co_ci_u32_e32 v49, vcc_lo, 0, v109, vcc_lo
	v_add_co_u32 v80, vcc_lo, 0x1540, v156
	ds_read2_b64 v[76:79], v166 offset0:196 offset1:245
	global_load_dwordx4 v[126:129], v[58:59], off offset:48
	buffer_store_dword v4, off, s[28:31], 0 offset:104 ; 4-byte Folded Spill
	buffer_store_dword v5, off, s[28:31], 0 offset:108 ; 4-byte Folded Spill
	v_fma_f64 v[154:155], v[219:220], v[74:75], -v[175:176]
	s_waitcnt vmcnt(8) lgkmcnt(1)
	v_mul_f64 v[54:55], v[241:242], v[62:63]
	v_fma_f64 v[136:137], v[56:57], v[227:228], v[162:163]
	v_mul_f64 v[56:57], v[46:47], v[241:242]
	v_mul_f64 v[66:67], v[52:53], v[233:234]
	v_add_co_ci_u32_e32 v81, vcc_lo, 0, v177, vcc_lo
	s_clause 0x1
	global_load_dwordx4 v[176:179], v[48:49], off offset:16
	global_load_dwordx4 v[180:183], v[58:59], off offset:32
	v_fma_f64 v[170:171], v[227:228], v[68:69], -v[70:71]
	v_fma_f64 v[223:224], v[235:236], v[64:65], -v[50:51]
	v_add_f64 v[48:49], v[211:212], v[249:250]
	v_add_f64 v[50:51], v[86:87], v[114:115]
	;; [unrolled: 1-line block ×7, first 2 shown]
	v_add_f64 v[92:93], v[118:119], -v[92:93]
	v_add_f64 v[114:115], v[86:87], -v[114:115]
	;; [unrolled: 1-line block ×3, first 2 shown]
	s_waitcnt vmcnt(9)
	v_mul_f64 v[52:53], v[96:97], v[60:61]
	v_mul_f64 v[74:75], v[44:45], v[96:97]
	v_add_f64 v[96:97], v[84:85], v[124:125]
	v_fma_f64 v[225:226], v[46:47], v[239:240], v[54:55]
	v_fma_f64 v[227:228], v[239:240], v[62:63], -v[56:57]
	v_fma_f64 v[229:230], v[231:232], v[72:73], -v[66:67]
	v_add_f64 v[46:47], v[173:174], -v[184:185]
	v_add_f64 v[54:55], v[194:195], v[186:187]
	v_add_f64 v[62:63], v[164:165], v[213:214]
	;; [unrolled: 1-line block ×5, first 2 shown]
	v_add_f64 v[194:195], v[194:195], -v[186:187]
	v_add_f64 v[100:101], v[100:101], -v[243:244]
	;; [unrolled: 1-line block ×5, first 2 shown]
	v_add_f64 v[203:204], v[192:193], v[199:200]
	v_add_f64 v[84:85], v[84:85], -v[124:125]
	v_add_f64 v[118:119], v[211:212], -v[249:250]
	v_fma_f64 v[231:232], v[44:45], v[94:95], v[52:53]
	v_fma_f64 v[162:163], v[94:95], v[60:61], -v[74:75]
	v_add_f64 v[44:45], v[190:191], -v[110:111]
	v_add_f64 v[52:53], v[164:165], -v[213:214]
	v_add_f64 v[60:61], v[173:174], v[184:185]
	v_add_f64 v[74:75], v[16:17], v[116:117]
	;; [unrolled: 1-line block ×7, first 2 shown]
	v_add_f64 v[16:17], v[16:17], -v[116:117]
	v_add_f64 v[116:117], v[158:159], -v[245:246]
	;; [unrolled: 1-line block ×3, first 2 shown]
	s_clause 0x1
	global_load_dwordx4 v[110:113], v[167:168], off offset:1344
	global_load_dwordx4 v[184:187], v[80:81], off offset:16
	v_add_f64 v[80:81], v[196:197], -v[247:248]
	v_add_f64 v[196:197], v[54:55], v[56:57]
	v_add_f64 v[211:212], v[66:67], -v[62:63]
	v_add_f64 v[213:214], v[194:195], -v[92:93]
	;; [unrolled: 1-line block ×3, first 2 shown]
	v_add_f64 v[92:93], v[92:93], v[100:101]
	v_add_f64 v[188:189], v[44:45], -v[52:53]
	v_add_f64 v[207:208], v[60:61], v[62:63]
	v_add_f64 v[209:210], v[60:61], -v[66:67]
	v_add_f64 v[122:123], v[72:73], v[173:174]
	v_add_f64 v[124:125], v[74:75], v[190:191]
	;; [unrolled: 1-line block ×4, first 2 shown]
	v_add_f64 v[201:202], v[54:55], -v[205:206]
	v_add_f64 v[167:168], v[164:165], v[203:204]
	v_add_f64 v[173:174], v[46:47], -v[44:45]
	v_add_f64 v[203:204], v[205:206], -v[56:57]
	;; [unrolled: 1-line block ×6, first 2 shown]
	v_add_f64 v[100:101], v[16:17], v[116:117]
	v_add_f64 v[62:63], v[80:81], -v[16:17]
	v_add_f64 v[16:17], v[16:17], -v[116:117]
	v_add_f64 v[196:197], v[205:206], v[196:197]
	v_add_f64 v[205:206], v[118:119], -v[18:19]
	v_add_f64 v[116:117], v[116:117], -v[80:81]
	v_mul_f64 v[211:212], v[211:212], s[12:13]
	v_add_f64 v[207:208], v[66:67], v[207:208]
	v_add_f64 v[92:93], v[194:195], v[92:93]
	v_mul_f64 v[188:189], v[188:189], s[16:17]
	s_waitcnt lgkmcnt(0)
	v_add_f64 v[4:5], v[78:79], v[122:123]
	v_add_f64 v[78:79], v[64:65], -v[74:75]
	v_add_f64 v[44:45], v[76:77], v[134:135]
	v_add_f64 v[76:77], v[48:49], -v[72:73]
	v_add_f64 v[72:73], v[72:73], -v[50:51]
	;; [unrolled: 1-line block ×4, first 2 shown]
	v_add_f64 v[50:51], v[18:19], v[114:115]
	v_add_f64 v[64:65], v[68:69], -v[64:65]
	v_add_f64 v[68:69], v[70:71], -v[94:95]
	;; [unrolled: 1-line block ×7, first 2 shown]
	v_add_f64 v[199:200], v[82:83], v[0:1]
	v_add_f64 v[46:47], v[46:47], v[190:191]
	;; [unrolled: 1-line block ×3, first 2 shown]
	v_mul_f64 v[66:67], v[201:202], s[4:5]
	v_add_f64 v[18:19], v[18:19], -v[114:115]
	v_mul_f64 v[203:204], v[203:204], s[12:13]
	v_add_f64 v[114:115], v[114:115], -v[118:119]
	v_add_f64 v[80:81], v[80:81], v[100:101]
	v_add_f64 v[100:101], v[40:41], -v[82:83]
	v_add_f64 v[82:83], v[82:83], -v[0:1]
	;; [unrolled: 1-line block ×3, first 2 shown]
	v_mul_f64 v[194:195], v[52:53], s[0:1]
	v_mul_f64 v[72:73], v[72:73], s[12:13]
	v_fma_f64 v[52:53], v[52:53], s[0:1], -v[188:189]
	v_add_f64 v[50:51], v[118:119], v[50:51]
	v_add_f64 v[118:119], v[90:91], -v[98:99]
	v_add_f64 v[98:99], v[98:99], -v[84:85]
	;; [unrolled: 1-line block ×3, first 2 shown]
	v_mul_f64 v[94:95], v[94:95], s[12:13]
	v_mul_f64 v[16:17], v[16:17], s[16:17]
	;; [unrolled: 1-line block ×3, first 2 shown]
	v_add_f64 v[2:3], v[22:23], v[124:125]
	v_add_f64 v[40:41], v[40:41], v[199:200]
	v_mul_f64 v[199:200], v[209:210], s[4:5]
	v_add_f64 v[217:218], v[90:91], v[190:191]
	v_mul_f64 v[90:91], v[60:61], s[0:1]
	v_mul_f64 v[190:191], v[215:216], s[16:17]
	v_fma_f64 v[215:216], v[54:55], s[18:19], -v[66:67]
	v_mul_f64 v[66:67], v[76:77], s[4:5]
	v_fma_f64 v[201:202], v[201:202], s[4:5], v[203:204]
	v_fma_f64 v[54:55], v[54:55], s[6:7], -v[203:204]
	v_fma_f64 v[203:204], v[209:210], s[4:5], v[211:212]
	v_mul_f64 v[82:83], v[82:83], s[16:17]
	v_fma_f64 v[194:195], v[173:174], s[22:23], -v[194:195]
	v_fma_f64 v[173:174], v[173:174], s[20:21], v[188:189]
	v_mul_f64 v[188:189], v[116:117], s[0:1]
	v_fma_f64 v[76:77], v[76:77], s[4:5], v[72:73]
	v_add_f64 v[42:43], v[20:21], v[167:168]
	v_mul_f64 v[18:19], v[18:19], s[16:17]
	v_fma_f64 v[52:53], v[46:47], s[14:15], v[52:53]
	v_fma_f64 v[233:234], v[68:69], s[4:5], v[94:95]
	v_fma_f64 v[237:238], v[70:71], s[6:7], -v[94:95]
	v_fma_f64 v[134:135], v[134:135], s[10:11], v[44:45]
	v_fma_f64 v[209:210], v[56:57], s[18:19], -v[199:200]
	v_fma_f64 v[56:57], v[56:57], s[6:7], -v[211:212]
	;; [unrolled: 1-line block ×3, first 2 shown]
	v_fma_f64 v[211:212], v[213:214], s[20:21], v[190:191]
	v_mul_f64 v[199:200], v[78:79], s[4:5]
	v_fma_f64 v[213:214], v[48:49], s[18:19], -v[66:67]
	v_mul_f64 v[66:67], v[68:69], s[4:5]
	v_mul_f64 v[68:69], v[96:97], s[4:5]
	v_fma_f64 v[48:49], v[48:49], s[6:7], -v[72:73]
	v_fma_f64 v[239:240], v[100:101], s[20:21], v[82:83]
	v_fma_f64 v[60:61], v[60:61], s[0:1], -v[190:191]
	v_mul_f64 v[190:191], v[114:115], s[0:1]
	v_fma_f64 v[72:73], v[62:63], s[22:23], -v[188:189]
	v_fma_f64 v[62:63], v[62:63], s[20:21], v[16:17]
	v_fma_f64 v[16:17], v[116:117], s[0:1], -v[16:17]
	v_mul_f64 v[116:117], v[0:1], s[0:1]
	v_fma_f64 v[0:1], v[0:1], s[0:1], -v[82:83]
	v_fma_f64 v[82:83], v[46:47], s[14:15], v[194:195]
	v_fma_f64 v[78:79], v[78:79], s[4:5], v[74:75]
	;; [unrolled: 1-line block ×4, first 2 shown]
	v_fma_f64 v[219:220], v[64:65], s[18:19], -v[199:200]
	v_fma_f64 v[64:65], v[64:65], s[6:7], -v[74:75]
	;; [unrolled: 1-line block ×3, first 2 shown]
	v_mul_f64 v[66:67], v[164:165], s[12:13]
	v_fma_f64 v[243:244], v[192:193], s[18:19], -v[68:69]
	v_mul_f64 v[68:69], v[98:99], s[16:17]
	v_add_co_u32 v74, vcc_lo, 0x1000, v108
	v_add_co_ci_u32_e32 v75, vcc_lo, 0, v109, vcc_lo
	v_fma_f64 v[221:222], v[205:206], s[22:23], -v[190:191]
	v_fma_f64 v[94:95], v[80:81], s[14:15], v[72:73]
	v_fma_f64 v[205:206], v[205:206], s[20:21], v[18:19]
	global_load_dwordx4 v[188:191], v[74:75], off offset:1280
	v_fma_f64 v[70:71], v[46:47], s[14:15], v[173:174]
	v_fma_f64 v[98:99], v[80:81], s[14:15], v[62:63]
	v_fma_f64 v[18:19], v[114:115], s[0:1], -v[18:19]
	v_fma_f64 v[164:165], v[100:101], s[22:23], -v[116:117]
	v_fma_f64 v[60:61], v[92:93], s[14:15], v[60:61]
	v_fma_f64 v[16:17], v[80:81], s[14:15], v[16:17]
	;; [unrolled: 1-line block ×4, first 2 shown]
	v_fma_f64 v[245:246], v[192:193], s[6:7], -v[66:67]
	v_mul_f64 v[66:67], v[84:85], s[0:1]
	ds_read2_b64 v[192:195], v198 offset0:38 offset1:87
	v_fma_f64 v[249:250], v[84:85], s[0:1], -v[68:69]
	s_clause 0x3
	buffer_load_dword v20, off, s[28:31], 0 offset:88
	buffer_load_dword v21, off, s[28:31], 0 offset:92
	;; [unrolled: 1-line block ×4, first 2 shown]
	v_fma_f64 v[84:85], v[92:93], s[14:15], v[211:212]
	v_fma_f64 v[173:174], v[50:51], s[14:15], v[221:222]
	v_fma_f64 v[18:19], v[50:51], s[14:15], v[18:19]
	v_fma_f64 v[247:248], v[118:119], s[22:23], -v[66:67]
	v_fma_f64 v[118:119], v[118:119], s[20:21], v[68:69]
	s_waitcnt lgkmcnt(0)
	v_add_f64 v[68:69], v[192:193], v[196:197]
	v_fma_f64 v[24:25], v[196:197], s[10:11], v[68:69]
	v_add_f64 v[72:73], v[201:202], v[24:25]
	global_load_dwordx4 v[199:202], v[74:75], off offset:1344
	buffer_store_dword v2, off, s[28:31], 0 offset:68 ; 4-byte Folded Spill
	buffer_store_dword v3, off, s[28:31], 0 offset:72 ; 4-byte Folded Spill
	;; [unrolled: 1-line block ×4, first 2 shown]
	v_add_f64 v[62:63], v[215:216], v[24:25]
	v_add_f64 v[24:25], v[54:55], v[24:25]
	s_waitcnt vmcnt(6)
	v_mul_f64 v[158:159], v[12:13], v[186:187]
	s_waitcnt vmcnt(3)
	v_add_f64 v[66:67], v[20:21], v[207:208]
	v_fma_f64 v[46:47], v[207:208], s[10:11], v[66:67]
	v_add_f64 v[80:81], v[56:57], v[46:47]
	v_add_f64 v[92:93], v[209:210], v[46:47]
	;; [unrolled: 1-line block ×3, first 2 shown]
	v_add_nc_u32_e32 v46, 0x3400, v166
	v_add_f64 v[56:57], v[52:53], v[24:25]
	ds_read2_b64 v[114:117], v46 offset0:100 offset1:149
	v_fma_f64 v[54:55], v[122:123], s[10:11], v[4:5]
	v_fma_f64 v[74:75], v[124:125], s[10:11], v[2:3]
	;; [unrolled: 1-line block ×3, first 2 shown]
	global_load_dwordx4 v[203:206], v[58:59], off offset:16
	v_add_f64 v[46:47], v[60:61], v[80:81]
	v_add_f64 v[50:51], v[92:93], -v[90:91]
	s_waitcnt vmcnt(2)
	v_mov_b32_e32 v4, v22
	v_mov_b32_e32 v5, v23
	v_add_f64 v[100:101], v[48:49], v[54:55]
	v_add_f64 v[207:208], v[76:77], v[54:55]
	;; [unrolled: 1-line block ×4, first 2 shown]
	v_add_co_u32 v219, vcc_lo, 0x1500, v108
	v_add_co_ci_u32_e32 v220, vcc_lo, 0, v109, vcc_lo
	v_add_f64 v[124:125], v[64:65], v[74:75]
	v_add_f64 v[192:193], v[213:214], v[54:55]
	v_add_f64 v[48:49], v[24:25], -v[52:53]
	global_load_dwordx4 v[211:214], v[219:220], off offset:16
	v_add_f64 v[54:55], v[80:81], -v[60:61]
	v_add_f64 v[52:53], v[82:83], v[62:63]
	v_add_f64 v[64:65], v[62:63], -v[82:83]
	v_add_f64 v[62:63], v[90:91], v[92:93]
	v_add_f64 v[60:61], v[70:71], v[72:73]
	v_add_f64 v[58:59], v[96:97], -v[84:85]
	v_add_f64 v[72:73], v[72:73], -v[70:71]
	v_add_f64 v[70:71], v[84:85], v[96:97]
	v_fma_f64 v[24:25], v[217:218], s[14:15], v[118:119]
	v_fma_f64 v[118:119], v[40:41], s[14:15], v[164:165]
	v_add_f64 v[76:77], v[100:101], -v[16:17]
	v_add_f64 v[92:93], v[16:17], v[100:101]
	v_add_f64 v[84:85], v[98:99], v[207:208]
	v_add_f64 v[82:83], v[209:210], -v[122:123]
	v_add_f64 v[100:101], v[207:208], -v[98:99]
	v_add_f64 v[98:99], v[122:123], v[209:210]
	ds_read2_b64 v[207:210], v172 offset0:54 offset1:103
	v_add_f64 v[78:79], v[196:197], -v[173:174]
	v_add_f64 v[74:75], v[18:19], v[124:125]
	v_add_f64 v[90:91], v[124:125], -v[18:19]
	v_add_f64 v[80:81], v[94:95], v[192:193]
	;; [unrolled: 2-line block ×3, first 2 shown]
	s_waitcnt lgkmcnt(1)
	v_mul_f64 v[16:17], v[106:107], v[116:117]
	v_fma_f64 v[18:19], v[40:41], s[14:15], v[239:240]
	v_add_f64 v[164:165], v[241:242], v[167:168]
	v_mul_f64 v[106:107], v[30:31], v[106:107]
	v_add_f64 v[173:174], v[243:244], v[167:168]
	v_mul_f64 v[192:193], v[112:113], v[114:115]
	v_add_f64 v[40:41], v[245:246], v[167:168]
	v_fma_f64 v[167:168], v[217:218], s[14:15], v[247:248]
	v_fma_f64 v[196:197], v[217:218], s[14:15], v[249:250]
	v_mul_f64 v[112:113], v[28:29], v[112:113]
	v_add_f64 v[122:123], v[233:234], v[134:135]
	v_add_f64 v[124:125], v[235:236], v[134:135]
	;; [unrolled: 1-line block ×3, first 2 shown]
	s_waitcnt lgkmcnt(0)
	v_mul_f64 v[215:216], v[132:133], v[209:210]
	v_mul_f64 v[132:133], v[34:35], v[132:133]
	;; [unrolled: 1-line block ×3, first 2 shown]
	v_fma_f64 v[16:17], v[30:31], v[104:105], v[16:17]
	v_fma_f64 v[233:234], v[104:105], v[116:117], -v[106:107]
	v_add_f64 v[104:105], v[164:165], -v[24:25]
	v_fma_f64 v[192:193], v[28:29], v[110:111], v[192:193]
	v_mul_f64 v[28:29], v[10:11], v[178:179]
	v_add_f64 v[108:109], v[173:174], -v[167:168]
	v_add_f64 v[245:246], v[196:197], v[40:41]
	v_fma_f64 v[235:236], v[110:111], v[114:115], -v[112:113]
	v_add_f64 v[112:113], v[40:41], -v[196:197]
	v_add_f64 v[116:117], v[167:168], v[173:174]
	ds_read2_b64 v[172:175], v169 offset0:10 offset1:59
	v_fma_f64 v[40:41], v[34:35], v[130:131], v[215:216]
	s_clause 0x1
	global_load_dwordx4 v[215:218], v[219:220], off offset:48
	global_load_dwordx4 v[219:222], v[219:220], off offset:32
	s_clause 0x1
	buffer_load_dword v2, off, s[28:31], 0 offset:124
	buffer_load_dword v3, off, s[28:31], 0 offset:128
	v_add_f64 v[110:111], v[118:119], v[124:125]
	v_add_f64 v[118:119], v[124:125], -v[118:119]
	v_add_f64 v[106:107], v[18:19], v[122:123]
	v_add_f64 v[124:125], v[122:123], -v[18:19]
	;; [unrolled: 2-line block ×3, first 2 shown]
	v_add_f64 v[24:25], v[160:161], -v[144:145]
	v_add_f64 v[247:248], v[134:135], -v[0:1]
	v_add_f64 v[114:115], v[0:1], v[134:135]
	v_mul_f64 v[0:1], v[32:33], v[182:183]
	v_fma_f64 v[134:135], v[130:131], v[209:210], -v[132:133]
	v_fma_f64 v[164:165], v[32:33], v[180:181], v[237:238]
	v_add_f64 v[32:33], v[142:143], -v[36:37]
	v_add_f64 v[130:131], v[154:155], v[146:147]
	v_add_f64 v[132:133], v[142:143], v[36:37]
	;; [unrolled: 1-line block ×3, first 2 shown]
	s_waitcnt lgkmcnt(0)
	v_mul_f64 v[142:143], v[186:187], v[174:175]
	v_mul_f64 v[160:161], v[178:179], v[172:173]
	v_add_f64 v[146:147], v[154:155], -v[146:147]
	v_add_f64 v[154:155], v[152:153], v[140:141]
	v_add_f64 v[152:153], v[152:153], -v[140:141]
	v_add_f64 v[148:149], v[148:149], v[138:139]
	v_fma_f64 v[158:159], v[184:185], v[174:175], -v[158:159]
	v_fma_f64 v[172:173], v[176:177], v[172:173], -v[28:29]
	v_add_f64 v[140:141], v[18:19], v[24:25]
	v_add_f64 v[30:31], v[18:19], -v[24:25]
	v_fma_f64 v[0:1], v[180:181], v[207:208], -v[0:1]
	v_add_f64 v[207:208], v[229:230], -v[134:135]
	v_add_f64 v[24:25], v[24:25], -v[32:33]
	;; [unrolled: 1-line block ×3, first 2 shown]
	v_add_f64 v[20:21], v[132:133], v[144:145]
	v_fma_f64 v[167:168], v[12:13], v[184:185], v[142:143]
	v_fma_f64 v[160:161], v[10:11], v[176:177], v[160:161]
	v_add_f64 v[178:179], v[130:131], -v[154:155]
	v_add_f64 v[180:181], v[32:33], v[140:141]
	ds_read2_b64 v[138:141], v166 offset0:98 offset1:147
	s_clause 0x3
	buffer_load_dword v10, off, s[28:31], 0 offset:52
	buffer_load_dword v11, off, s[28:31], 0 offset:56
	;; [unrolled: 1-line block ×4, first 2 shown]
	v_add_f64 v[32:33], v[146:147], v[152:153]
	v_mul_f64 v[30:31], v[30:31], s[16:17]
	v_mul_f64 v[176:177], v[178:179], s[12:13]
	v_add_f64 v[178:179], v[132:133], -v[148:149]
	v_add_f64 v[132:133], v[144:145], -v[132:133]
	s_waitcnt vmcnt(4)
	v_add_f64 v[34:35], v[2:3], v[26:27]
	v_add_f64 v[2:3], v[2:3], -v[26:27]
	v_mul_f64 v[26:27], v[4:5], v[190:191]
	v_add_f64 v[142:143], v[34:35], v[154:155]
	v_add_f64 v[174:175], v[34:35], -v[130:131]
	v_add_f64 v[34:35], v[154:155], -v[34:35]
	v_add_f64 v[184:185], v[2:3], v[32:33]
	v_mul_f64 v[32:33], v[190:191], v[194:195]
	v_add_f64 v[154:155], v[148:149], v[20:21]
	v_add_f64 v[182:183], v[2:3], -v[146:147]
	v_add_f64 v[146:147], v[146:147], -v[152:153]
	;; [unrolled: 1-line block ×4, first 2 shown]
	v_fma_f64 v[152:153], v[18:19], s[20:21], v[30:31]
	v_add_f64 v[190:191], v[150:151], v[16:17]
	v_add_f64 v[16:17], v[150:151], -v[16:17]
	v_add_f64 v[150:151], v[229:230], v[134:135]
	v_add_f64 v[28:29], v[130:131], v[142:143]
	v_mul_f64 v[142:143], v[174:175], s[4:5]
	v_fma_f64 v[174:175], v[174:175], s[4:5], v[176:177]
	v_mul_f64 v[130:131], v[24:25], s[0:1]
	v_fma_f64 v[24:25], v[24:25], s[0:1], -v[30:31]
	v_mul_f64 v[30:31], v[178:179], s[4:5]
	v_fma_f64 v[152:153], v[180:181], s[14:15], v[152:153]
	s_waitcnt lgkmcnt(0)
	v_add_f64 v[20:21], v[140:141], v[28:29]
	v_fma_f64 v[142:143], v[34:35], s[18:19], -v[142:143]
	v_fma_f64 v[34:35], v[34:35], s[6:7], -v[176:177]
	v_fma_f64 v[176:177], v[4:5], v[188:189], v[32:33]
	s_clause 0x1
	buffer_load_dword v4, off, s[28:31], 0 offset:104
	buffer_load_dword v5, off, s[28:31], 0 offset:108
	v_fma_f64 v[130:131], v[18:19], s[22:23], -v[130:131]
	s_waitcnt vmcnt(2)
	v_add_f64 v[18:19], v[12:13], v[154:155]
	v_mul_f64 v[32:33], v[2:3], s[0:1]
	v_mul_f64 v[140:141], v[148:149], s[12:13]
	;; [unrolled: 1-line block ×3, first 2 shown]
	v_fma_f64 v[186:187], v[180:181], s[14:15], v[24:25]
	v_fma_f64 v[188:189], v[188:189], v[194:195], -v[26:27]
	v_add_f64 v[194:195], v[225:226], -v[136:137]
	v_add_nc_u32_e32 v12, 0x1000, v166
	v_fma_f64 v[144:145], v[28:29], s[10:11], v[20:21]
	v_fma_f64 v[28:29], v[132:133], s[18:19], -v[30:31]
	v_fma_f64 v[130:131], v[180:181], s[14:15], v[130:131]
	v_fma_f64 v[146:147], v[154:155], s[10:11], v[18:19]
	v_fma_f64 v[30:31], v[182:183], s[22:23], -v[32:33]
	v_fma_f64 v[32:33], v[132:133], s[6:7], -v[140:141]
	;; [unrolled: 1-line block ×3, first 2 shown]
	v_fma_f64 v[178:179], v[178:179], s[4:5], v[140:141]
	v_mul_f64 v[140:141], v[201:202], v[120:121]
	v_mul_f64 v[201:202], v[38:39], v[201:202]
	v_fma_f64 v[148:149], v[182:183], s[20:21], v[148:149]
	v_add_f64 v[34:35], v[34:35], v[144:145]
	v_add_f64 v[132:133], v[142:143], v[144:145]
	;; [unrolled: 1-line block ×4, first 2 shown]
	v_fma_f64 v[154:155], v[184:185], s[14:15], v[30:31]
	v_add_f64 v[32:33], v[32:33], v[146:147]
	v_fma_f64 v[2:3], v[184:185], s[14:15], v[2:3]
	v_add_f64 v[178:179], v[178:179], v[146:147]
	v_fma_f64 v[22:23], v[38:39], v[199:200], v[140:141]
	v_fma_f64 v[120:121], v[199:200], v[120:121], -v[201:202]
	v_add_f64 v[201:202], v[16:17], -v[194:195]
	v_fma_f64 v[148:149], v[184:185], s[14:15], v[148:149]
	v_add_f64 v[30:31], v[34:35], -v[186:187]
	v_add_f64 v[34:35], v[186:187], v[34:35]
	v_add_f64 v[186:187], v[223:224], v[233:234]
	;; [unrolled: 1-line block ×3, first 2 shown]
	v_add_f64 v[132:133], v[132:133], -v[130:131]
	v_add_f64 v[223:224], v[223:224], -v[233:234]
	;; [unrolled: 1-line block ×3, first 2 shown]
	v_add_f64 v[130:131], v[154:155], v[142:143]
	v_add_f64 v[28:29], v[2:3], v[32:33]
	v_add_f64 v[32:33], v[32:33], -v[2:3]
	v_add_f64 v[2:3], v[227:228], v[170:171]
	v_add_f64 v[154:155], v[225:226], v[136:137]
	v_add_f64 v[169:170], v[227:228], -v[170:171]
	ds_read2_b64 v[140:143], v255 offset0:92 offset1:141
	v_mul_f64 v[225:226], v[8:9], v[205:206]
	v_add_f64 v[227:228], v[150:151], -v[186:187]
	v_add_f64 v[229:230], v[207:208], -v[223:224]
	v_add_f64 v[136:137], v[2:3], v[186:187]
	v_add_f64 v[233:234], v[223:224], -v[169:170]
	v_add_f64 v[223:224], v[207:208], v[223:224]
	v_add_f64 v[209:210], v[150:151], v[136:137]
	ds_read2_b64 v[134:137], v12 offset0:174 offset1:223
	v_add_f64 v[150:151], v[2:3], -v[150:151]
	v_add_f64 v[2:3], v[186:187], -v[2:3]
	v_add_f64 v[146:147], v[138:139], v[209:210]
	s_waitcnt lgkmcnt(0)
	v_mul_f64 v[138:139], v[205:206], v[136:137]
	v_mul_f64 v[205:206], v[128:129], v[142:143]
	;; [unrolled: 1-line block ×4, first 2 shown]
	v_fma_f64 v[136:137], v[203:204], v[136:137], -v[225:226]
	v_add_f64 v[225:226], v[162:163], v[158:159]
	v_add_f64 v[158:159], v[162:163], -v[158:159]
	v_fma_f64 v[14:15], v[8:9], v[203:204], v[138:139]
	v_mul_f64 v[138:139], v[201:202], s[0:1]
	v_fma_f64 v[203:204], v[253:254], v[126:127], v[205:206]
	v_fma_f64 v[142:143], v[126:127], v[142:143], -v[128:129]
	v_fma_f64 v[126:127], v[209:210], s[10:11], v[146:147]
	v_fma_f64 v[186:187], v[2:3], s[18:19], -v[186:187]
	v_mul_f64 v[205:206], v[229:230], s[16:17]
	v_add_f64 v[229:230], v[188:189], v[172:173]
	v_add_f64 v[8:9], v[148:149], v[178:179]
	v_add_f64 v[172:173], v[188:189], -v[172:173]
	v_add_f64 v[209:210], v[14:15], -v[192:193]
	v_add_f64 v[192:193], v[14:15], v[192:193]
	v_add_f64 v[14:15], v[178:179], -v[148:149]
	v_add_f64 v[186:187], v[186:187], v[126:127]
	s_waitcnt vmcnt(0)
	v_add_f64 v[196:197], v[4:5], -v[40:41]
	v_add_f64 v[4:5], v[4:5], v[40:41]
	v_add_f64 v[40:41], v[154:155], v[190:191]
	v_add_f64 v[180:181], v[196:197], -v[16:17]
	v_add_f64 v[182:183], v[194:195], -v[196:197]
	v_add_f64 v[16:17], v[196:197], v[16:17]
	v_mul_f64 v[196:197], v[227:228], s[12:13]
	v_add_f64 v[40:41], v[4:5], v[40:41]
	v_add_f64 v[199:200], v[4:5], -v[190:191]
	v_add_f64 v[4:5], v[154:155], -v[4:5]
	;; [unrolled: 1-line block ×3, first 2 shown]
	v_add_f64 v[227:228], v[136:137], v[235:236]
	v_mul_f64 v[180:181], v[180:181], s[16:17]
	v_fma_f64 v[138:139], v[182:183], s[22:23], -v[138:139]
	v_add_f64 v[194:195], v[194:195], v[16:17]
	v_fma_f64 v[128:129], v[150:151], s[4:5], v[196:197]
	v_fma_f64 v[2:3], v[2:3], s[6:7], -v[196:197]
	v_add_f64 v[144:145], v[10:11], v[40:41]
	v_mul_f64 v[199:200], v[199:200], s[12:13]
	v_add_f64 v[10:11], v[169:170], -v[207:208]
	v_mul_f64 v[207:208], v[233:234], s[0:1]
	v_mul_f64 v[184:185], v[4:5], s[4:5]
	v_add_f64 v[150:151], v[169:170], v[223:224]
	v_add_f64 v[169:170], v[203:204], -v[164:165]
	v_mul_f64 v[196:197], v[6:7], v[213:214]
	v_add_f64 v[16:17], v[152:153], v[174:175]
	v_add_f64 v[164:165], v[203:204], v[164:165]
	v_fma_f64 v[190:191], v[182:183], s[20:21], v[180:181]
	v_mul_f64 v[182:183], v[213:214], v[134:135]
	v_fma_f64 v[180:181], v[201:202], s[0:1], -v[180:181]
	v_add_f64 v[201:202], v[225:226], v[227:228]
	v_add_f64 v[2:3], v[2:3], v[126:127]
	v_fma_f64 v[40:41], v[40:41], s[10:11], v[144:145]
	v_fma_f64 v[4:5], v[4:5], s[4:5], v[199:200]
	;; [unrolled: 1-line block ×3, first 2 shown]
	v_fma_f64 v[207:208], v[10:11], s[22:23], -v[207:208]
	v_fma_f64 v[184:185], v[154:155], s[18:19], -v[184:185]
	;; [unrolled: 1-line block ×4, first 2 shown]
	v_add_f64 v[205:206], v[142:143], v[0:1]
	v_add_f64 v[213:214], v[231:232], v[167:168]
	v_add_f64 v[167:168], v[231:232], -v[167:168]
	v_add_f64 v[10:11], v[174:175], -v[152:153]
	;; [unrolled: 1-line block ×3, first 2 shown]
	v_fma_f64 v[196:197], v[211:212], v[134:135], -v[196:197]
	v_mul_f64 v[134:135], v[221:222], v[102:103]
	v_add_f64 v[0:1], v[142:143], -v[0:1]
	v_add_f64 v[142:143], v[136:137], -v[235:236]
	;; [unrolled: 1-line block ×3, first 2 shown]
	v_fma_f64 v[174:175], v[194:195], s[14:15], v[190:191]
	v_fma_f64 v[12:13], v[6:7], v[211:212], v[182:183]
	v_add_f64 v[182:183], v[128:129], v[126:127]
	ds_read2_b64 v[126:129], v166 offset1:49
	s_clause 0x3
	buffer_load_dword v36, off, s[28:31], 0 offset:36
	buffer_load_dword v37, off, s[28:31], 0 offset:40
	;; [unrolled: 1-line block ×4, first 2 shown]
	v_fma_f64 v[211:212], v[194:195], s[14:15], v[138:139]
	v_add_f64 v[190:191], v[4:5], v[40:41]
	v_mul_f64 v[4:5], v[217:218], v[140:141]
	v_mul_f64 v[138:139], v[88:89], v[221:222]
	;; [unrolled: 1-line block ×3, first 2 shown]
	v_add_f64 v[184:185], v[184:185], v[40:41]
	v_fma_f64 v[180:181], v[194:195], s[14:15], v[180:181]
	v_add_f64 v[201:202], v[205:206], v[201:202]
	v_add_f64 v[221:222], v[213:214], v[192:193]
	;; [unrolled: 1-line block ×3, first 2 shown]
	v_fma_f64 v[194:195], v[150:151], s[14:15], v[199:200]
	v_add_f64 v[199:200], v[167:168], -v[169:170]
	v_mul_f64 v[203:204], v[152:153], s[16:17]
	v_add_f64 v[152:153], v[169:170], v[209:210]
	v_add_f64 v[154:155], v[205:206], -v[227:228]
	v_fma_f64 v[134:135], v[88:89], v[219:220], v[134:135]
	v_add_f64 v[231:232], v[196:197], v[120:121]
	v_fma_f64 v[223:224], v[150:151], s[14:15], v[223:224]
	v_fma_f64 v[207:208], v[150:151], s[14:15], v[207:208]
	v_add_f64 v[209:210], v[209:210], -v[167:168]
	v_add_f64 v[120:121], v[196:197], -v[120:121]
	;; [unrolled: 1-line block ×4, first 2 shown]
	v_add_f64 v[6:7], v[174:175], v[182:183]
	v_fma_f64 v[169:170], v[251:252], v[215:216], v[4:5]
	v_fma_f64 v[102:103], v[219:220], v[102:103], -v[138:139]
	v_fma_f64 v[215:216], v[215:216], v[140:141], -v[217:218]
	v_add_f64 v[217:218], v[176:177], v[160:161]
	v_add_f64 v[219:220], v[12:13], v[22:23]
	s_waitcnt lgkmcnt(0)
	v_add_f64 v[136:137], v[128:129], v[201:202]
	v_add_f64 v[128:129], v[164:165], v[221:222]
	v_add_f64 v[150:151], v[2:3], -v[180:181]
	v_add_f64 v[221:222], v[0:1], -v[142:143]
	;; [unrolled: 1-line block ×4, first 2 shown]
	v_add_f64 v[166:167], v[167:168], v[152:153]
	v_mul_f64 v[233:234], v[154:155], s[12:13]
	v_add_f64 v[154:155], v[180:181], v[2:3]
	v_add_f64 v[22:23], v[229:230], v[231:232]
	v_add_f64 v[2:3], v[213:214], -v[164:165]
	v_add_f64 v[176:177], v[158:159], -v[0:1]
	v_add_f64 v[0:1], v[0:1], v[142:143]
	v_add_f64 v[142:143], v[142:143], -v[158:159]
	v_add_f64 v[148:149], v[194:195], v[40:41]
	v_mul_f64 v[164:165], v[178:179], s[12:13]
	v_mul_f64 v[178:179], v[209:210], s[0:1]
	v_add_f64 v[235:236], v[169:170], -v[134:135]
	v_add_f64 v[168:169], v[169:170], v[134:135]
	v_add_f64 v[237:238], v[215:216], v[102:103]
	v_add_f64 v[102:103], v[215:216], -v[102:103]
	v_add_f64 v[239:240], v[217:218], v[219:220]
	v_fma_f64 v[170:171], v[201:202], s[10:11], v[136:137]
	v_add_f64 v[201:202], v[227:228], -v[225:226]
	v_add_f64 v[152:153], v[40:41], -v[194:195]
	v_mul_f64 v[180:181], v[221:222], s[16:17]
	v_add_f64 v[241:242], v[120:121], -v[172:173]
	v_fma_f64 v[162:163], v[199:200], s[20:21], v[203:204]
	v_mul_f64 v[188:189], v[205:206], s[4:5]
	v_fma_f64 v[196:197], v[205:206], s[4:5], v[233:234]
	v_fma_f64 v[203:204], v[209:210], s[0:1], -v[203:204]
	v_add_f64 v[4:5], v[190:191], -v[223:224]
	v_mul_f64 v[227:228], v[2:3], s[4:5]
	v_add_f64 v[140:141], v[211:212], v[186:187]
	v_add_f64 v[158:159], v[158:159], v[0:1]
	v_mul_f64 v[213:214], v[142:143], s[0:1]
	v_add_f64 v[138:139], v[184:185], -v[207:208]
	v_fma_f64 v[178:179], v[199:200], s[22:23], -v[178:179]
	v_add_f64 v[221:222], v[168:169], -v[219:220]
	v_add_f64 v[22:23], v[237:238], v[22:23]
	v_add_f64 v[215:216], v[237:238], -v[231:232]
	v_add_f64 v[194:195], v[168:169], v[239:240]
	v_add_f64 v[205:206], v[229:230], -v[237:238]
	v_add_f64 v[225:226], v[102:103], -v[120:121]
	v_fma_f64 v[239:240], v[2:3], s[4:5], v[164:165]
	v_add_f64 v[168:169], v[217:218], -v[168:169]
	v_fma_f64 v[199:200], v[176:177], s[20:21], v[180:181]
	v_add_f64 v[243:244], v[172:173], -v[102:103]
	v_add_f64 v[102:103], v[102:103], v[120:121]
	v_add_f64 v[217:218], v[219:220], -v[217:218]
	v_mul_f64 v[219:220], v[241:242], s[0:1]
	v_fma_f64 v[164:165], v[192:193], s[6:7], -v[164:165]
	v_fma_f64 v[227:228], v[192:193], s[18:19], -v[227:228]
	;; [unrolled: 1-line block ×3, first 2 shown]
	v_fma_f64 v[40:41], v[166:167], s[14:15], v[162:163]
	v_fma_f64 v[176:177], v[176:177], s[22:23], -v[213:214]
	v_add_f64 v[196:197], v[196:197], v[170:171]
	v_fma_f64 v[188:189], v[201:202], s[18:19], -v[188:189]
	v_fma_f64 v[201:202], v[201:202], s[6:7], -v[233:234]
	v_fma_f64 v[209:210], v[166:167], s[14:15], v[178:179]
	v_mul_f64 v[221:222], v[221:222], s[12:13]
	v_add_f64 v[2:3], v[126:127], v[22:23]
	v_mul_f64 v[215:216], v[215:216], s[12:13]
	v_fma_f64 v[166:167], v[166:167], s[14:15], v[203:204]
	v_add_f64 v[162:163], v[235:236], -v[12:13]
	v_mul_f64 v[225:226], v[225:226], s[16:17]
	v_add_f64 v[237:238], v[12:13], -v[160:161]
	v_add_f64 v[12:13], v[235:236], v[12:13]
	v_fma_f64 v[199:200], v[158:159], s[14:15], v[199:200]
	v_add_f64 v[235:236], v[160:161], -v[235:236]
	v_add_f64 v[102:103], v[172:173], v[102:103]
	v_mul_f64 v[126:127], v[205:206], s[4:5]
	v_fma_f64 v[213:214], v[243:244], s[22:23], -v[219:220]
	v_add_f64 v[229:230], v[231:232], -v[229:230]
	v_mul_f64 v[231:232], v[168:169], s[4:5]
	v_fma_f64 v[142:143], v[158:159], s[14:15], v[142:143]
	v_add_f64 v[188:189], v[188:189], v[170:171]
	v_add_f64 v[170:171], v[201:202], v[170:171]
	v_fma_f64 v[168:169], v[168:169], s[4:5], v[221:222]
	v_fma_f64 v[22:23], v[22:23], s[10:11], v[2:3]
	;; [unrolled: 1-line block ×3, first 2 shown]
	v_mul_f64 v[162:163], v[162:163], s[16:17]
	v_fma_f64 v[201:202], v[241:242], s[0:1], -v[225:226]
	v_mul_f64 v[120:121], v[237:238], s[0:1]
	v_add_f64 v[12:13], v[160:161], v[12:13]
	v_add_f64 v[160:161], v[182:183], -v[174:175]
	v_fma_f64 v[172:173], v[229:230], s[18:19], -v[126:127]
	v_fma_f64 v[205:206], v[217:218], s[18:19], -v[231:232]
	;; [unrolled: 1-line block ×3, first 2 shown]
	v_add_f64 v[126:127], v[207:208], v[184:185]
	v_add_f64 v[174:175], v[209:210], v[188:189]
	;; [unrolled: 1-line block ×3, first 2 shown]
	v_fma_f64 v[178:179], v[235:236], s[20:21], v[162:163]
	v_fma_f64 v[162:163], v[237:238], s[0:1], -v[162:163]
	v_fma_f64 v[120:121], v[235:236], s[22:23], -v[120:121]
	v_fma_f64 v[207:208], v[12:13], s[14:15], v[178:179]
	v_add_f64 v[178:179], v[170:171], -v[166:167]
	v_fma_f64 v[120:121], v[12:13], s[14:15], v[120:121]
	v_fma_f64 v[12:13], v[12:13], s[14:15], v[162:163]
	s_waitcnt vmcnt(0)
	v_add_f64 v[134:135], v[38:39], v[128:129]
	v_add_f64 v[0:1], v[36:37], v[194:195]
	v_fma_f64 v[128:129], v[128:129], s[10:11], v[134:135]
	v_fma_f64 v[192:193], v[194:195], s[10:11], v[0:1]
	;; [unrolled: 1-line block ×4, first 2 shown]
	v_add_f64 v[219:220], v[227:228], v[128:129]
	v_fma_f64 v[227:228], v[158:159], s[14:15], v[176:177]
	v_fma_f64 v[176:177], v[217:218], s[6:7], -v[221:222]
	v_add_f64 v[203:204], v[164:165], v[128:129]
	v_add_f64 v[158:159], v[223:224], v[190:191]
	;; [unrolled: 1-line block ×3, first 2 shown]
	v_add_f64 v[190:191], v[196:197], -v[40:41]
	s_clause 0x1
	buffer_load_dword v40, off, s[28:31], 0 offset:8
	buffer_load_dword v41, off, s[28:31], 0 offset:12
	v_add_f64 v[239:240], v[239:240], v[128:129]
	v_add_f64 v[128:129], v[186:187], -v[211:212]
	v_add_f64 v[211:212], v[180:181], v[22:23]
	v_add_f64 v[168:169], v[168:169], v[192:193]
	v_fma_f64 v[217:218], v[102:103], s[14:15], v[194:195]
	v_add_f64 v[221:222], v[172:173], v[22:23]
	v_add_f64 v[223:224], v[205:206], v[192:193]
	v_fma_f64 v[102:103], v[102:103], s[14:15], v[201:202]
	v_add_f64 v[22:23], v[215:216], v[22:23]
	s_waitcnt vmcnt(0)
	v_mov_b32_e32 v41, v157
	v_add_f64 v[186:187], v[188:189], -v[209:210]
	v_add_f64 v[184:185], v[227:228], v[219:220]
	v_add_f64 v[213:214], v[176:177], v[192:193]
	;; [unrolled: 1-line block ×3, first 2 shown]
	v_add_f64 v[180:181], v[203:204], -v[142:143]
	s_clause 0x1
	buffer_load_dword v142, off, s[28:31], 0
	buffer_load_dword v143, off, s[28:31], 0 offset:4
	v_add_f64 v[172:173], v[219:220], -v[227:228]
	v_add_f64 v[162:163], v[239:240], -v[199:200]
	v_add_f64 v[188:189], v[199:200], v[239:240]
	v_add_f64 v[194:195], v[207:208], v[211:212]
	v_add_f64 v[206:207], v[211:212], -v[207:208]
	v_add_f64 v[204:205], v[217:218], v[168:169]
	v_add_f64 v[202:203], v[120:121], v[221:222]
	v_add_f64 v[200:201], v[223:224], -v[225:226]
	v_add_f64 v[192:193], v[168:169], -v[217:218]
	;; [unrolled: 1-line block ×3, first 2 shown]
	v_add_f64 v[198:199], v[12:13], v[22:23]
	v_add_f64 v[208:209], v[102:103], v[213:214]
	v_add_f64 v[196:197], v[213:214], -v[102:103]
	v_add_f64 v[214:215], v[221:222], -v[120:121]
	v_add_f64 v[212:213], v[225:226], v[223:224]
	v_lshlrev_b64 v[40:41], 4, v[40:41]
	s_waitcnt vmcnt(1)
	v_add_co_u32 v142, vcc_lo, s2, v142
	s_waitcnt vmcnt(0)
	v_add_co_ci_u32_e32 v143, vcc_lo, s3, v143, vcc_lo
	v_add_co_u32 v40, vcc_lo, v142, v40
	v_add_co_ci_u32_e32 v41, vcc_lo, v143, v41, vcc_lo
	v_add_co_u32 v12, vcc_lo, 0x1000, v40
	v_add_co_ci_u32_e32 v13, vcc_lo, 0, v41, vcc_lo
	global_store_dwordx4 v[40:41], v[0:3], off
	global_store_dwordx4 v[12:13], v[204:207], off offset:1392
	v_add_co_u32 v0, vcc_lo, 0x2800, v40
	v_add_co_ci_u32_e32 v1, vcc_lo, 0, v41, vcc_lo
	v_add_co_u32 v2, vcc_lo, 0x4000, v40
	v_add_co_ci_u32_e32 v3, vcc_lo, 0, v41, vcc_lo
	;; [unrolled: 2-line block ×5, first 2 shown]
	global_store_dwordx4 v[0:1], v[212:215], off offset:736
	global_store_dwordx4 v[2:3], v[196:199], off offset:80
	;; [unrolled: 1-line block ×5, first 2 shown]
	v_add_co_u32 v12, vcc_lo, 0x1800, v40
	v_add_co_ci_u32_e32 v13, vcc_lo, 0, v41, vcc_lo
	v_add_co_u32 v120, vcc_lo, 0x5800, v40
	v_add_co_ci_u32_e32 v121, vcc_lo, 0, v41, vcc_lo
	global_store_dwordx4 v[40:41], v[134:137], off offset:784
	global_store_dwordx4 v[12:13], v[188:191], off offset:128
	;; [unrolled: 1-line block ×8, first 2 shown]
	buffer_load_dword v135, off, s[28:31], 0 offset:16 ; 4-byte Folded Reload
	v_add_co_u32 v0, vcc_lo, 0x3000, v40
	v_add_co_ci_u32_e32 v1, vcc_lo, 0, v41, vcc_lo
	v_add_co_u32 v22, vcc_lo, 0x7000, v40
	v_add_co_ci_u32_e32 v23, vcc_lo, 0, v41, vcc_lo
	global_store_dwordx4 v[12:13], v[158:161], off offset:912
	global_store_dwordx4 v[0:1], v[126:129], off offset:256
	;; [unrolled: 1-line block ×6, first 2 shown]
	v_add_co_u32 v2, vcc_lo, 0x800, v40
	v_add_co_ci_u32_e32 v3, vcc_lo, 0, v41, vcc_lo
	s_waitcnt vmcnt(0)
	v_mul_hi_u32 v134, 0xbf112a8b, v135
	v_lshrrev_b32_e32 v4, 8, v134
	v_mad_u32_u24 v156, 0x80a, v4, v135
	v_add_co_u32 v4, vcc_lo, 0x4800, v40
	v_add_co_ci_u32_e32 v5, vcc_lo, 0, v41, vcc_lo
	v_lshlrev_b64 v[6:7], 4, v[156:157]
	global_store_dwordx4 v[2:3], v[18:21], off offset:304
	global_store_dwordx4 v[12:13], v[8:11], off offset:1696
	;; [unrolled: 1-line block ×4, first 2 shown]
	v_add_co_u32 v0, vcc_lo, v142, v6
	v_add_co_ci_u32_e32 v1, vcc_lo, v143, v7, vcc_lo
	v_add_co_u32 v2, vcc_lo, 0x8800, v40
	v_add_co_ci_u32_e32 v3, vcc_lo, 0, v41, vcc_lo
	;; [unrolled: 2-line block ×3, first 2 shown]
	global_store_dwordx4 v[120:121], v[28:31], off offset:1776
	global_store_dwordx4 v[22:23], v[24:27], off offset:1120
	;; [unrolled: 1-line block ×3, first 2 shown]
	global_store_dwordx4 v[0:1], v[42:45], off
	global_store_dwordx4 v[4:5], v[122:125], off offset:1392
	buffer_load_dword v11, off, s[28:31], 0 offset:84 ; 4-byte Folded Reload
	v_add_co_u32 v2, vcc_lo, 0x2800, v0
	v_add_co_ci_u32_e32 v3, vcc_lo, 0, v1, vcc_lo
	v_add_co_u32 v4, vcc_lo, 0x4000, v0
	v_add_co_ci_u32_e32 v5, vcc_lo, 0, v1, vcc_lo
	;; [unrolled: 2-line block ×3, first 2 shown]
	s_waitcnt vmcnt(0)
	v_mul_hi_u32 v8, 0xbf112a8b, v11
	v_lshrrev_b32_e32 v10, 8, v8
	v_add_co_u32 v8, vcc_lo, 0x6800, v0
	v_add_co_ci_u32_e32 v9, vcc_lo, 0, v1, vcc_lo
	global_store_dwordx4 v[2:3], v[116:119], off offset:736
	global_store_dwordx4 v[4:5], v[112:115], off offset:80
	;; [unrolled: 1-line block ×4, first 2 shown]
	buffer_load_dword v9, off, s[28:31], 0 offset:120 ; 4-byte Folded Reload
	v_add_co_u32 v0, vcc_lo, 0x8000, v0
	v_add_co_ci_u32_e32 v1, vcc_lo, 0, v1, vcc_lo
	v_mad_u32_u24 v156, 0x80a, v10, v11
	global_store_dwordx4 v[0:1], v[104:107], off offset:160
	s_clause 0x3
	buffer_load_dword v10, off, s[28:31], 0 offset:68
	buffer_load_dword v11, off, s[28:31], 0 offset:72
	;; [unrolled: 1-line block ×4, first 2 shown]
	v_lshlrev_b64 v[2:3], 4, v[156:157]
	v_add_co_u32 v2, vcc_lo, v142, v2
	v_add_co_ci_u32_e32 v3, vcc_lo, v143, v3, vcc_lo
	v_add_co_u32 v0, vcc_lo, 0x1000, v2
	v_add_co_ci_u32_e32 v1, vcc_lo, 0, v3, vcc_lo
	;; [unrolled: 2-line block ×4, first 2 shown]
	s_waitcnt vmcnt(0)
	global_store_dwordx4 v[2:3], v[10:13], off
	global_store_dwordx4 v[0:1], v[98:101], off offset:1392
	global_store_dwordx4 v[4:5], v[94:97], off offset:736
	;; [unrolled: 1-line block ×3, first 2 shown]
	v_mul_hi_u32 v8, 0xbf112a8b, v9
	v_add_co_u32 v0, vcc_lo, 0x5000, v2
	v_add_co_ci_u32_e32 v1, vcc_lo, 0, v3, vcc_lo
	v_add_co_u32 v6, vcc_lo, 0x6800, v2
	v_add_co_ci_u32_e32 v7, vcc_lo, 0, v3, vcc_lo
	v_lshrrev_b32_e32 v8, 8, v8
	v_mad_u32_u24 v156, 0x80a, v8, v9
	v_lshlrev_b64 v[4:5], 4, v[156:157]
	v_add_co_u32 v4, vcc_lo, v142, v4
	v_add_co_ci_u32_e32 v5, vcc_lo, v143, v5, vcc_lo
	v_add_co_u32 v2, vcc_lo, 0x8000, v2
	v_add_co_ci_u32_e32 v3, vcc_lo, 0, v3, vcc_lo
	;; [unrolled: 2-line block ×3, first 2 shown]
	global_store_dwordx4 v[0:1], v[74:77], off offset:1472
	global_store_dwordx4 v[6:7], v[78:81], off offset:816
	;; [unrolled: 1-line block ×3, first 2 shown]
	global_store_dwordx4 v[4:5], v[66:69], off
	global_store_dwordx4 v[8:9], v[70:73], off offset:1392
	v_add_co_u32 v0, vcc_lo, 0x2800, v4
	v_add_co_ci_u32_e32 v1, vcc_lo, 0, v5, vcc_lo
	v_add_co_u32 v2, vcc_lo, 0x4000, v4
	v_add_co_ci_u32_e32 v3, vcc_lo, 0, v5, vcc_lo
	;; [unrolled: 2-line block ×5, first 2 shown]
	global_store_dwordx4 v[0:1], v[62:65], off offset:736
	global_store_dwordx4 v[2:3], v[54:57], off offset:80
	;; [unrolled: 1-line block ×5, first 2 shown]
.LBB0_13:
	s_endpgm
	.section	.rodata,"a",@progbits
	.p2align	6, 0x0
	.amdhsa_kernel fft_rtc_back_len2401_factors_7_7_7_7_wgs_49_tpt_49_halfLds_dp_ip_CI_unitstride_sbrr_dirReg
		.amdhsa_group_segment_fixed_size 0
		.amdhsa_private_segment_fixed_size 136
		.amdhsa_kernarg_size 88
		.amdhsa_user_sgpr_count 6
		.amdhsa_user_sgpr_private_segment_buffer 1
		.amdhsa_user_sgpr_dispatch_ptr 0
		.amdhsa_user_sgpr_queue_ptr 0
		.amdhsa_user_sgpr_kernarg_segment_ptr 1
		.amdhsa_user_sgpr_dispatch_id 0
		.amdhsa_user_sgpr_flat_scratch_init 0
		.amdhsa_user_sgpr_private_segment_size 0
		.amdhsa_wavefront_size32 1
		.amdhsa_uses_dynamic_stack 0
		.amdhsa_system_sgpr_private_segment_wavefront_offset 1
		.amdhsa_system_sgpr_workgroup_id_x 1
		.amdhsa_system_sgpr_workgroup_id_y 0
		.amdhsa_system_sgpr_workgroup_id_z 0
		.amdhsa_system_sgpr_workgroup_info 0
		.amdhsa_system_vgpr_workitem_id 0
		.amdhsa_next_free_vgpr 256
		.amdhsa_next_free_sgpr 32
		.amdhsa_reserve_vcc 1
		.amdhsa_reserve_flat_scratch 0
		.amdhsa_float_round_mode_32 0
		.amdhsa_float_round_mode_16_64 0
		.amdhsa_float_denorm_mode_32 3
		.amdhsa_float_denorm_mode_16_64 3
		.amdhsa_dx10_clamp 1
		.amdhsa_ieee_mode 1
		.amdhsa_fp16_overflow 0
		.amdhsa_workgroup_processor_mode 1
		.amdhsa_memory_ordered 1
		.amdhsa_forward_progress 0
		.amdhsa_shared_vgpr_count 0
		.amdhsa_exception_fp_ieee_invalid_op 0
		.amdhsa_exception_fp_denorm_src 0
		.amdhsa_exception_fp_ieee_div_zero 0
		.amdhsa_exception_fp_ieee_overflow 0
		.amdhsa_exception_fp_ieee_underflow 0
		.amdhsa_exception_fp_ieee_inexact 0
		.amdhsa_exception_int_div_zero 0
	.end_amdhsa_kernel
	.text
.Lfunc_end0:
	.size	fft_rtc_back_len2401_factors_7_7_7_7_wgs_49_tpt_49_halfLds_dp_ip_CI_unitstride_sbrr_dirReg, .Lfunc_end0-fft_rtc_back_len2401_factors_7_7_7_7_wgs_49_tpt_49_halfLds_dp_ip_CI_unitstride_sbrr_dirReg
                                        ; -- End function
	.section	.AMDGPU.csdata,"",@progbits
; Kernel info:
; codeLenInByte = 33132
; NumSgprs: 34
; NumVgprs: 256
; ScratchSize: 136
; MemoryBound: 1
; FloatMode: 240
; IeeeMode: 1
; LDSByteSize: 0 bytes/workgroup (compile time only)
; SGPRBlocks: 4
; VGPRBlocks: 31
; NumSGPRsForWavesPerEU: 34
; NumVGPRsForWavesPerEU: 256
; Occupancy: 4
; WaveLimiterHint : 1
; COMPUTE_PGM_RSRC2:SCRATCH_EN: 1
; COMPUTE_PGM_RSRC2:USER_SGPR: 6
; COMPUTE_PGM_RSRC2:TRAP_HANDLER: 0
; COMPUTE_PGM_RSRC2:TGID_X_EN: 1
; COMPUTE_PGM_RSRC2:TGID_Y_EN: 0
; COMPUTE_PGM_RSRC2:TGID_Z_EN: 0
; COMPUTE_PGM_RSRC2:TIDIG_COMP_CNT: 0
	.text
	.p2alignl 6, 3214868480
	.fill 48, 4, 3214868480
	.type	__hip_cuid_c2121892235aa679,@object ; @__hip_cuid_c2121892235aa679
	.section	.bss,"aw",@nobits
	.globl	__hip_cuid_c2121892235aa679
__hip_cuid_c2121892235aa679:
	.byte	0                               ; 0x0
	.size	__hip_cuid_c2121892235aa679, 1

	.ident	"AMD clang version 19.0.0git (https://github.com/RadeonOpenCompute/llvm-project roc-6.4.0 25133 c7fe45cf4b819c5991fe208aaa96edf142730f1d)"
	.section	".note.GNU-stack","",@progbits
	.addrsig
	.addrsig_sym __hip_cuid_c2121892235aa679
	.amdgpu_metadata
---
amdhsa.kernels:
  - .args:
      - .actual_access:  read_only
        .address_space:  global
        .offset:         0
        .size:           8
        .value_kind:     global_buffer
      - .offset:         8
        .size:           8
        .value_kind:     by_value
      - .actual_access:  read_only
        .address_space:  global
        .offset:         16
        .size:           8
        .value_kind:     global_buffer
      - .actual_access:  read_only
        .address_space:  global
        .offset:         24
        .size:           8
        .value_kind:     global_buffer
      - .offset:         32
        .size:           8
        .value_kind:     by_value
      - .actual_access:  read_only
        .address_space:  global
        .offset:         40
        .size:           8
        .value_kind:     global_buffer
      - .actual_access:  read_only
        .address_space:  global
        .offset:         48
        .size:           8
        .value_kind:     global_buffer
      - .offset:         56
        .size:           4
        .value_kind:     by_value
      - .actual_access:  read_only
        .address_space:  global
        .offset:         64
        .size:           8
        .value_kind:     global_buffer
      - .actual_access:  read_only
        .address_space:  global
        .offset:         72
        .size:           8
        .value_kind:     global_buffer
      - .address_space:  global
        .offset:         80
        .size:           8
        .value_kind:     global_buffer
    .group_segment_fixed_size: 0
    .kernarg_segment_align: 8
    .kernarg_segment_size: 88
    .language:       OpenCL C
    .language_version:
      - 2
      - 0
    .max_flat_workgroup_size: 49
    .name:           fft_rtc_back_len2401_factors_7_7_7_7_wgs_49_tpt_49_halfLds_dp_ip_CI_unitstride_sbrr_dirReg
    .private_segment_fixed_size: 136
    .sgpr_count:     34
    .sgpr_spill_count: 0
    .symbol:         fft_rtc_back_len2401_factors_7_7_7_7_wgs_49_tpt_49_halfLds_dp_ip_CI_unitstride_sbrr_dirReg.kd
    .uniform_work_group_size: 1
    .uses_dynamic_stack: false
    .vgpr_count:     256
    .vgpr_spill_count: 58
    .wavefront_size: 32
    .workgroup_processor_mode: 1
amdhsa.target:   amdgcn-amd-amdhsa--gfx1030
amdhsa.version:
  - 1
  - 2
...

	.end_amdgpu_metadata
